;; amdgpu-corpus repo=ROCm/rocFFT kind=compiled arch=gfx1030 opt=O3
	.text
	.amdgcn_target "amdgcn-amd-amdhsa--gfx1030"
	.amdhsa_code_object_version 6
	.protected	bluestein_single_back_len1750_dim1_sp_op_CI_CI ; -- Begin function bluestein_single_back_len1750_dim1_sp_op_CI_CI
	.globl	bluestein_single_back_len1750_dim1_sp_op_CI_CI
	.p2align	8
	.type	bluestein_single_back_len1750_dim1_sp_op_CI_CI,@function
bluestein_single_back_len1750_dim1_sp_op_CI_CI: ; @bluestein_single_back_len1750_dim1_sp_op_CI_CI
; %bb.0:
	s_load_dwordx4 s[8:11], s[4:5], 0x28
	v_mul_u32_u24_e32 v1, 0x177, v0
	v_mov_b32_e32 v81, 0
	s_mov_b32 s0, exec_lo
	v_lshrrev_b32_e32 v1, 16, v1
	v_add_nc_u32_e32 v80, s6, v1
	s_waitcnt lgkmcnt(0)
	v_cmpx_gt_u64_e64 s[8:9], v[80:81]
	s_cbranch_execz .LBB0_10
; %bb.1:
	s_clause 0x1
	s_load_dwordx4 s[0:3], s[4:5], 0x18
	s_load_dwordx4 s[12:15], s[4:5], 0x0
	v_mul_lo_u16 v1, 0xaf, v1
	v_mov_b32_e32 v35, 3
	v_sub_nc_u16 v32, v0, v1
	v_and_b32_e32 v105, 0xffff, v32
	v_lshlrev_b32_e32 v106, 3, v105
	v_add_co_u32 v116, null, 0xaf, v105
	s_waitcnt lgkmcnt(0)
	s_load_dwordx4 s[16:19], s[0:1], 0x0
	s_clause 0x1
	global_load_dwordx2 v[95:96], v106, s[12:13]
	global_load_dwordx2 v[83:84], v106, s[12:13] offset:1400
	v_add_co_u32 v14, s0, s12, v106
	v_add_co_ci_u32_e64 v15, null, s13, 0, s0
	v_add_nc_u32_e32 v34, 0x2000, v106
	v_add_co_u32 v0, vcc_lo, 0x1800, v14
	v_add_co_ci_u32_e32 v1, vcc_lo, 0, v15, vcc_lo
	v_add_co_u32 v2, vcc_lo, 0x2000, v14
	v_add_co_ci_u32_e32 v3, vcc_lo, 0, v15, vcc_lo
	v_add_co_u32 v4, vcc_lo, 0x800, v14
	v_add_co_ci_u32_e32 v5, vcc_lo, 0, v15, vcc_lo
	s_waitcnt lgkmcnt(0)
	v_mad_u64_u32 v[6:7], null, s18, v80, 0
	v_add_co_u32 v8, vcc_lo, 0x1000, v14
	v_mad_u64_u32 v[10:11], null, s16, v105, 0
	v_add_co_ci_u32_e32 v9, vcc_lo, 0, v15, vcc_lo
	v_add_co_u32 v12, vcc_lo, 0x2800, v14
	v_mad_u64_u32 v[16:17], null, s19, v80, v[7:8]
	s_clause 0x1
	global_load_dwordx2 v[99:100], v[0:1], off offset:856
	global_load_dwordx2 v[93:94], v[4:5], off offset:752
	v_mad_u64_u32 v[0:1], null, s17, v105, v[11:12]
	v_add_co_ci_u32_e32 v13, vcc_lo, 0, v15, vcc_lo
	v_add_co_u32 v14, vcc_lo, 0x3000, v14
	v_mov_b32_e32 v7, v16
	v_add_co_ci_u32_e32 v15, vcc_lo, 0, v15, vcc_lo
	v_mov_b32_e32 v11, v0
	s_clause 0x2
	global_load_dwordx2 v[97:98], v[2:3], off offset:208
	global_load_dwordx2 v[91:92], v[2:3], off offset:1608
	;; [unrolled: 1-line block ×3, first 2 shown]
	v_lshlrev_b64 v[0:1], 3, v[6:7]
	s_mul_i32 s0, s17, 0x1b58
	s_mul_hi_u32 s1, s16, 0x1b58
	v_lshlrev_b64 v[2:3], 3, v[10:11]
	s_mul_i32 s6, s16, 0x1b58
	s_add_i32 s1, s1, s0
	v_add_co_u32 v0, vcc_lo, s10, v0
	v_add_co_ci_u32_e32 v1, vcc_lo, s11, v1, vcc_lo
	s_mul_hi_u32 s8, s16, 0xffffea20
	v_add_co_u32 v0, vcc_lo, v0, v2
	v_add_co_ci_u32_e32 v1, vcc_lo, v1, v3, vcc_lo
	s_mul_i32 s7, s17, 0xffffea20
	v_add_co_u32 v2, vcc_lo, v0, s6
	v_add_co_ci_u32_e32 v3, vcc_lo, s1, v1, vcc_lo
	s_mul_i32 s9, s16, 0xffffea20
	s_sub_i32 s0, s8, s16
	v_add_co_u32 v4, vcc_lo, v2, s9
	s_add_i32 s0, s0, s7
	global_load_dwordx2 v[81:82], v[12:13], off offset:960
	v_add_co_ci_u32_e32 v5, vcc_lo, s0, v3, vcc_lo
	v_add_co_u32 v6, vcc_lo, v4, s6
	s_clause 0x1
	global_load_dwordx2 v[0:1], v[0:1], off
	global_load_dwordx2 v[2:3], v[2:3], off
	v_add_co_ci_u32_e32 v7, vcc_lo, s1, v5, vcc_lo
	v_add_co_u32 v10, vcc_lo, v6, s9
	v_add_nc_u32_e32 v37, 0xa00, v106
	v_add_co_ci_u32_e32 v11, vcc_lo, s0, v7, vcc_lo
	v_add_co_u32 v12, vcc_lo, v10, s6
	s_clause 0x1
	global_load_dwordx2 v[4:5], v[4:5], off
	global_load_dwordx2 v[6:7], v[6:7], off
	v_add_co_ci_u32_e32 v13, vcc_lo, s1, v11, vcc_lo
	v_add_co_u32 v16, vcc_lo, v12, s9
	global_load_dwordx2 v[10:11], v[10:11], off
	v_add_co_ci_u32_e32 v17, vcc_lo, s0, v13, vcc_lo
	v_add_co_u32 v18, vcc_lo, v16, s6
	;; [unrolled: 3-line block ×3, first 2 shown]
	global_load_dwordx2 v[16:17], v[16:17], off
	v_add_co_ci_u32_e32 v21, vcc_lo, s0, v19, vcc_lo
	global_load_dwordx2 v[18:19], v[18:19], off
	v_add_co_u32 v22, vcc_lo, v20, s6
	v_add_co_ci_u32_e32 v23, vcc_lo, s1, v21, vcc_lo
	global_load_dwordx2 v[85:86], v[8:9], off offset:1504
	global_load_dwordx2 v[8:9], v[20:21], off
	global_load_dwordx2 v[87:88], v[14:15], off offset:312
	global_load_dwordx2 v[14:15], v[22:23], off
	v_add_nc_u32_e32 v33, 0x2a00, v106
	v_add_nc_u32_e32 v36, 0x1400, v106
	s_load_dwordx4 s[8:11], s[2:3], 0x0
	v_and_b32_e32 v30, 1, v105
	v_and_b32_e32 v31, 1, v116
	v_lshlrev_b32_e32 v107, 4, v116
	v_lshlrev_b32_e32 v115, 4, v105
	s_load_dwordx2 s[6:7], s[4:5], 0x38
	v_lshlrev_b32_e32 v38, 5, v30
	v_lshlrev_b32_e32 v39, 5, v31
	v_cmp_gt_u16_e32 vcc_lo, 0x4b, v32
	s_waitcnt vmcnt(11)
	v_mul_f32_e32 v23, v0, v96
	s_waitcnt vmcnt(10)
	v_mul_f32_e32 v20, v3, v100
	v_mul_f32_e32 v21, v2, v100
	v_mul_f32_e32 v22, v1, v96
	v_fma_f32 v23, v1, v95, -v23
	v_fmac_f32_e32 v20, v2, v99
	v_fma_f32 v21, v3, v99, -v21
	v_fmac_f32_e32 v22, v0, v95
	s_waitcnt vmcnt(9)
	v_mul_f32_e32 v2, v5, v84
	v_mul_f32_e32 v1, v4, v84
	s_waitcnt vmcnt(8)
	v_mul_f32_e32 v0, v7, v98
	ds_write_b64 v106, v[20:21] offset:7000
	v_mul_f32_e32 v20, v6, v98
	v_fmac_f32_e32 v2, v4, v83
	s_waitcnt vmcnt(7)
	v_mul_f32_e32 v4, v11, v94
	v_fma_f32 v3, v5, v83, -v1
	v_mul_f32_e32 v5, v10, v94
	v_fmac_f32_e32 v0, v6, v97
	v_fma_f32 v1, v7, v97, -v20
	s_waitcnt vmcnt(6)
	v_mul_f32_e32 v6, v13, v92
	v_fmac_f32_e32 v4, v10, v93
	v_fma_f32 v5, v11, v93, -v5
	v_mul_f32_e32 v7, v12, v92
	s_waitcnt vmcnt(5)
	v_mul_f32_e32 v10, v17, v90
	v_mul_f32_e32 v11, v16, v90
	v_fmac_f32_e32 v6, v12, v91
	s_waitcnt vmcnt(4)
	v_mul_f32_e32 v12, v19, v82
	v_fma_f32 v7, v13, v91, -v7
	v_fmac_f32_e32 v10, v16, v89
	v_fma_f32 v11, v17, v89, -v11
	s_waitcnt vmcnt(2)
	v_mul_f32_e32 v16, v9, v86
	v_mul_f32_e32 v17, v8, v86
	;; [unrolled: 1-line block ×3, first 2 shown]
	v_fmac_f32_e32 v12, v18, v81
	s_waitcnt vmcnt(0)
	v_mul_f32_e32 v18, v15, v88
	v_mul_f32_e32 v20, v14, v88
	v_fmac_f32_e32 v16, v8, v85
	v_fma_f32 v17, v9, v85, -v17
	v_fma_f32 v13, v19, v81, -v13
	v_fmac_f32_e32 v18, v14, v87
	v_fma_f32 v19, v15, v87, -v20
	ds_write2_b64 v106, v[22:23], v[2:3] offset1:175
	ds_write2_b64 v34, v[0:1], v[6:7] offset0:26 offset1:201
	ds_write2_b64 v37, v[4:5], v[10:11] offset0:30 offset1:205
	ds_write_b64 v106, v[16:17] offset:5600
	ds_write2_b64 v33, v[12:13], v[18:19] offset0:56 offset1:231
	s_waitcnt lgkmcnt(0)
	s_barrier
	buffer_gl0_inv
	ds_read2_b64 v[0:3], v106 offset1:175
	ds_read2_b64 v[4:7], v34 offset0:26 offset1:201
	ds_read2_b64 v[8:11], v37 offset0:30 offset1:205
	;; [unrolled: 1-line block ×4, first 2 shown]
	v_lshlrev_b16 v20, 1, v32
	s_waitcnt lgkmcnt(0)
	s_barrier
	buffer_gl0_inv
	v_lshlrev_b32_sdwa v108, v35, v20 dst_sel:DWORD dst_unused:UNUSED_PAD src0_sel:DWORD src1_sel:WORD_0
	v_sub_f32_e32 v4, v2, v4
	v_sub_f32_e32 v5, v3, v5
	;; [unrolled: 1-line block ×10, first 2 shown]
	v_fma_f32 v22, v0, 2.0, -v24
	v_fma_f32 v23, v1, 2.0, -v25
	;; [unrolled: 1-line block ×10, first 2 shown]
	ds_write_b128 v108, v[22:25]
	ds_write_b128 v107, v[2:5]
	ds_write_b128 v115, v[18:21] offset:5600
	ds_write_b128 v115, v[10:13] offset:8400
	;; [unrolled: 1-line block ×3, first 2 shown]
	s_waitcnt lgkmcnt(0)
	s_barrier
	buffer_gl0_inv
	s_clause 0x3
	global_load_dwordx4 v[4:7], v38, s[14:15]
	global_load_dwordx4 v[0:3], v39, s[14:15]
	global_load_dwordx4 v[12:15], v38, s[14:15] offset:16
	global_load_dwordx4 v[8:11], v39, s[14:15] offset:16
	v_mov_b32_e32 v16, 0xcccd
	v_and_b32_e32 v17, 0xff, v32
	v_lshrrev_b32_e32 v18, 1, v116
	ds_read2_b64 v[20:23], v36 offset0:60 offset1:235
	v_mul_u32_u24_sdwa v16, v116, v16 dst_sel:DWORD dst_unused:UNUSED_PAD src0_sel:WORD_0 src1_sel:DWORD
	v_mul_lo_u16 v17, 0xcd, v17
	v_mul_u32_u24_e32 v25, 10, v18
	v_lshrrev_b32_e32 v38, 19, v16
	v_lshrrev_b32_e32 v16, 1, v105
	v_lshrrev_b16 v39, 11, v17
	v_or_b32_e32 v28, v25, v31
	v_mul_lo_u16 v17, v38, 10
	v_mul_u32_u24_e32 v16, 10, v16
	v_mul_lo_u16 v19, v39, 10
	v_lshlrev_b32_e32 v109, 3, v28
	v_sub_nc_u16 v41, v116, v17
	v_or_b32_e32 v24, v16, v30
	v_sub_nc_u16 v26, v32, v19
	ds_read2_b64 v[16:19], v37 offset0:30 offset1:205
	ds_read2_b64 v[28:31], v33 offset0:56 offset1:231
	v_lshlrev_b16 v27, 5, v41
	v_lshlrev_b32_e32 v110, 3, v24
	v_and_b32_e32 v40, 0xff, v26
	v_mad_u16 v41, v38, 50, v41
	v_and_b32_e32 v42, 0xffff, v27
	ds_read2_b64 v[24:27], v34 offset0:26 offset1:201
	v_lshlrev_b32_e32 v48, 5, v40
	v_lshlrev_b32_sdwa v113, v35, v41 dst_sel:DWORD dst_unused:UNUSED_PAD src0_sel:DWORD src1_sel:WORD_0
	v_add_co_u32 v46, s0, s14, v42
	ds_read2_b64 v[42:45], v106 offset1:175
	v_add_co_ci_u32_e64 v47, null, s15, 0, s0
	s_waitcnt vmcnt(0) lgkmcnt(0)
	s_barrier
	buffer_gl0_inv
	v_mul_f32_e32 v49, v17, v5
	v_mul_f32_e32 v50, v16, v5
	;; [unrolled: 1-line block ×16, first 2 shown]
	v_fma_f32 v16, v16, v4, -v49
	v_fmac_f32_e32 v50, v17, v4
	v_fma_f32 v17, v18, v0, -v52
	v_fma_f32 v18, v20, v6, -v51
	v_fmac_f32_e32 v54, v21, v6
	v_fmac_f32_e32 v56, v23, v2
	v_fma_f32 v23, v24, v12, -v57
	v_fmac_f32_e32 v58, v25, v12
	v_fma_f32 v51, v28, v14, -v61
	v_fmac_f32_e32 v62, v29, v14
	v_fmac_f32_e32 v53, v19, v0
	v_fma_f32 v22, v22, v2, -v55
	v_fma_f32 v49, v26, v8, -v59
	v_fmac_f32_e32 v60, v27, v8
	v_fma_f32 v52, v30, v10, -v63
	v_fmac_f32_e32 v64, v31, v10
	v_add_f32_e32 v21, v18, v23
	v_add_f32_e32 v24, v54, v58
	;; [unrolled: 1-line block ×3, first 2 shown]
	v_sub_f32_e32 v19, v16, v18
	v_sub_f32_e32 v20, v51, v23
	;; [unrolled: 1-line block ×4, first 2 shown]
	v_add_f32_e32 v28, v43, v50
	v_sub_f32_e32 v55, v50, v62
	v_add_f32_e32 v31, v16, v51
	v_sub_f32_e32 v63, v54, v50
	v_add_f32_e32 v50, v50, v62
	v_add_f32_e32 v66, v22, v49
	;; [unrolled: 1-line block ×5, first 2 shown]
	v_sub_f32_e32 v29, v18, v16
	v_sub_f32_e32 v30, v23, v51
	v_add_f32_e32 v68, v44, v17
	v_add_f32_e32 v73, v45, v53
	v_sub_f32_e32 v57, v16, v51
	v_sub_f32_e32 v69, v22, v17
	;; [unrolled: 1-line block ×4, first 2 shown]
	v_fma_f32 v16, -0.5, v21, v42
	v_fma_f32 v17, -0.5, v24, v43
	v_add_f32_e32 v24, v27, v18
	v_sub_f32_e32 v59, v54, v58
	v_sub_f32_e32 v61, v18, v23
	v_add_f32_e32 v104, v19, v20
	v_add_f32_e32 v111, v25, v26
	;; [unrolled: 1-line block ×3, first 2 shown]
	v_fma_f32 v18, -0.5, v31, v42
	v_fma_f32 v19, -0.5, v50, v43
	v_sub_f32_e32 v76, v56, v60
	v_sub_f32_e32 v78, v22, v49
	v_fma_f32 v20, -0.5, v66, v44
	v_fma_f32 v44, -0.5, v67, v44
	;; [unrolled: 1-line block ×3, first 2 shown]
	v_fmac_f32_e32 v45, -0.5, v72
	v_sub_f32_e32 v77, v53, v64
	v_add_f32_e32 v54, v29, v30
	v_add_f32_e32 v28, v68, v22
	v_add_f32_e32 v29, v73, v56
	v_add_f32_e32 v30, v24, v23
	v_fmamk_f32 v22, v55, 0x3f737871, v16
	v_fmamk_f32 v23, v57, 0xbf737871, v17
	v_sub_f32_e32 v65, v58, v62
	v_add_f32_e32 v31, v25, v58
	v_fmamk_f32 v24, v59, 0xbf737871, v18
	v_fmac_f32_e32 v18, 0x3f737871, v59
	v_fmamk_f32 v25, v61, 0x3f737871, v19
	v_fmac_f32_e32 v19, 0xbf737871, v61
	v_fmac_f32_e32 v16, 0xbf737871, v55
	;; [unrolled: 1-line block ×3, first 2 shown]
	v_sub_f32_e32 v70, v49, v52
	v_sub_f32_e32 v74, v56, v53
	;; [unrolled: 1-line block ×3, first 2 shown]
	v_fmamk_f32 v26, v76, 0xbf737871, v44
	v_fmac_f32_e32 v44, 0x3f737871, v76
	v_fmamk_f32 v27, v78, 0x3f737871, v45
	v_fmac_f32_e32 v45, 0xbf737871, v78
	v_sub_f32_e32 v53, v53, v56
	v_sub_f32_e32 v102, v52, v49
	v_sub_f32_e32 v103, v64, v60
	v_add_f32_e32 v42, v28, v49
	v_add_f32_e32 v43, v29, v60
	v_fmamk_f32 v28, v77, 0x3f737871, v20
	v_fmamk_f32 v29, v79, 0xbf737871, v21
	v_fmac_f32_e32 v20, 0xbf737871, v77
	v_fmac_f32_e32 v21, 0x3f737871, v79
	;; [unrolled: 1-line block ×4, first 2 shown]
	v_add_f32_e32 v50, v63, v65
	v_fmac_f32_e32 v24, 0x3f167918, v55
	v_fmac_f32_e32 v18, 0xbf167918, v55
	v_fmac_f32_e32 v25, 0xbf167918, v57
	v_fmac_f32_e32 v19, 0x3f167918, v57
	v_fmac_f32_e32 v16, 0xbf167918, v59
	v_fmac_f32_e32 v17, 0x3f167918, v61
	v_add_f32_e32 v63, v69, v70
	v_add_f32_e32 v65, v74, v75
	v_fmac_f32_e32 v26, 0x3f167918, v77
	v_fmac_f32_e32 v44, 0xbf167918, v77
	v_fmac_f32_e32 v27, 0xbf167918, v79
	v_fmac_f32_e32 v45, 0x3f167918, v79
	v_add_f32_e32 v56, v101, v102
	v_add_f32_e32 v53, v53, v103
	v_fmac_f32_e32 v28, 0x3f167918, v76
	v_fmac_f32_e32 v29, 0xbf167918, v78
	v_fmac_f32_e32 v20, 0xbf167918, v76
	v_fmac_f32_e32 v21, 0x3f167918, v78
	;; [unrolled: 6-line block ×3, first 2 shown]
	v_fmac_f32_e32 v25, 0x3e9e377a, v50
	v_fmac_f32_e32 v19, 0x3e9e377a, v50
	;; [unrolled: 1-line block ×8, first 2 shown]
	v_add_f32_e32 v42, v42, v52
	v_add_f32_e32 v43, v43, v64
	v_fmac_f32_e32 v28, 0x3e9e377a, v56
	v_fmac_f32_e32 v29, 0x3e9e377a, v53
	;; [unrolled: 1-line block ×4, first 2 shown]
	ds_write2_b64 v110, v[30:31], v[22:23] offset1:2
	ds_write2_b64 v110, v[24:25], v[18:19] offset0:4 offset1:6
	ds_write_b64 v110, v[16:17] offset:64
	ds_write2_b64 v109, v[26:27], v[44:45] offset0:4 offset1:6
	ds_write2_b64 v109, v[42:43], v[28:29] offset1:2
	ds_write_b64 v109, v[20:21] offset:64
	s_waitcnt lgkmcnt(0)
	s_barrier
	buffer_gl0_inv
	s_clause 0x3
	global_load_dwordx4 v[16:19], v48, s[14:15] offset:64
	global_load_dwordx4 v[20:23], v[46:47], off offset:64
	global_load_dwordx4 v[28:31], v48, s[14:15] offset:80
	global_load_dwordx4 v[24:27], v[46:47], off offset:80
	ds_read2_b64 v[42:45], v37 offset0:30 offset1:205
	v_mov_b32_e32 v37, 50
	ds_read2_b64 v[46:49], v36 offset0:60 offset1:235
	ds_read2_b64 v[50:53], v34 offset0:26 offset1:201
	ds_read2_b64 v[56:59], v106 offset1:175
	v_add_nc_u32_e32 v54, 0xf80, v106
	v_mul_u32_u24_sdwa v34, v39, v37 dst_sel:DWORD dst_unused:UNUSED_PAD src0_sel:WORD_0 src1_sel:DWORD
	ds_read2_b64 v[36:39], v33 offset0:56 offset1:231
	v_add_nc_u32_e32 v55, 0x1f40, v106
	s_waitcnt vmcnt(0) lgkmcnt(0)
	s_barrier
	v_add_lshl_u32 v114, v34, v40, 3
	buffer_gl0_inv
	v_mul_f32_e32 v33, v43, v17
	v_mul_f32_e32 v34, v42, v17
	;; [unrolled: 1-line block ×16, first 2 shown]
	v_fma_f32 v33, v42, v16, -v33
	v_fmac_f32_e32 v34, v43, v16
	v_fmac_f32_e32 v40, v45, v20
	v_fma_f32 v41, v46, v18, -v41
	v_fmac_f32_e32 v60, v47, v18
	v_fma_f32 v43, v50, v28, -v63
	;; [unrolled: 2-line block ×4, first 2 shown]
	v_fma_f32 v42, v48, v22, -v61
	v_fmac_f32_e32 v62, v49, v22
	v_fma_f32 v44, v52, v24, -v64
	v_fmac_f32_e32 v67, v53, v24
	;; [unrolled: 2-line block ×3, first 2 shown]
	v_sub_f32_e32 v36, v33, v41
	v_sub_f32_e32 v37, v45, v43
	v_add_f32_e32 v38, v41, v43
	v_add_f32_e32 v39, v60, v66
	;; [unrolled: 1-line block ×6, first 2 shown]
	v_sub_f32_e32 v47, v34, v60
	v_sub_f32_e32 v48, v68, v66
	;; [unrolled: 1-line block ×4, first 2 shown]
	v_add_f32_e32 v75, v42, v44
	v_add_f32_e32 v76, v62, v67
	;; [unrolled: 1-line block ×4, first 2 shown]
	v_sub_f32_e32 v77, v40, v62
	v_sub_f32_e32 v102, v40, v70
	v_add_f32_e32 v117, v35, v46
	v_sub_f32_e32 v119, v62, v40
	v_add_f32_e32 v40, v40, v70
	v_sub_f32_e32 v51, v34, v68
	v_sub_f32_e32 v52, v33, v45
	;; [unrolled: 1-line block ×3, first 2 shown]
	v_add_f32_e32 v121, v36, v37
	v_fma_f32 v33, -0.5, v38, v56
	v_fma_f32 v34, -0.5, v39, v57
	v_add_f32_e32 v37, v49, v41
	v_add_f32_e32 v38, v50, v60
	v_sub_f32_e32 v53, v60, v66
	v_sub_f32_e32 v61, v41, v43
	;; [unrolled: 1-line block ×5, first 2 shown]
	v_fma_f32 v35, -0.5, v65, v56
	v_fma_f32 v36, -0.5, v71, v57
	v_sub_f32_e32 v72, v66, v68
	v_sub_f32_e32 v111, v42, v44
	v_add_f32_e32 v47, v47, v48
	v_add_f32_e32 v48, v63, v64
	v_fma_f32 v64, -0.5, v75, v58
	v_fma_f32 v65, -0.5, v76, v59
	v_add_f32_e32 v41, v79, v42
	v_add_f32_e32 v42, v101, v62
	v_sub_f32_e32 v104, v62, v67
	v_fma_f32 v58, -0.5, v117, v58
	v_fmac_f32_e32 v59, -0.5, v40
	v_add_f32_e32 v43, v37, v43
	v_add_f32_e32 v66, v38, v66
	v_fmamk_f32 v37, v51, 0x3f737871, v33
	v_fmamk_f32 v38, v52, 0xbf737871, v34
	;; [unrolled: 1-line block ×3, first 2 shown]
	v_fmac_f32_e32 v35, 0x3f737871, v53
	v_fmamk_f32 v40, v61, 0x3f737871, v36
	v_fmac_f32_e32 v36, 0xbf737871, v61
	v_fmac_f32_e32 v33, 0xbf737871, v51
	;; [unrolled: 1-line block ×3, first 2 shown]
	v_sub_f32_e32 v74, v46, v44
	v_sub_f32_e32 v78, v70, v67
	;; [unrolled: 1-line block ×3, first 2 shown]
	v_add_f32_e32 v49, v69, v72
	v_add_f32_e32 v69, v41, v44
	;; [unrolled: 1-line block ×3, first 2 shown]
	v_fmamk_f32 v41, v102, 0x3f737871, v64
	v_fmamk_f32 v42, v103, 0xbf737871, v65
	v_sub_f32_e32 v118, v44, v46
	v_fmamk_f32 v56, v104, 0xbf737871, v58
	v_fmac_f32_e32 v58, 0x3f737871, v104
	v_fmamk_f32 v57, v111, 0x3f737871, v59
	v_fmac_f32_e32 v59, 0xbf737871, v111
	v_fmac_f32_e32 v64, 0xbf737871, v102
	;; [unrolled: 1-line block ×11, first 2 shown]
	v_add_f32_e32 v50, v73, v74
	v_add_f32_e32 v60, v77, v78
	v_fmac_f32_e32 v41, 0x3f167918, v104
	v_fmac_f32_e32 v42, 0xbf167918, v111
	v_add_f32_e32 v62, v112, v118
	v_add_f32_e32 v63, v119, v120
	v_fmac_f32_e32 v56, 0x3f167918, v102
	v_fmac_f32_e32 v58, 0xbf167918, v102
	;; [unrolled: 1-line block ×4, first 2 shown]
	v_add_f32_e32 v43, v43, v45
	v_add_f32_e32 v44, v66, v68
	v_fmac_f32_e32 v64, 0xbf167918, v104
	v_fmac_f32_e32 v65, 0x3f167918, v111
	;; [unrolled: 1-line block ×10, first 2 shown]
	v_add_f32_e32 v45, v69, v46
	v_add_f32_e32 v46, v67, v70
	v_fmac_f32_e32 v41, 0x3e9e377a, v50
	v_fmac_f32_e32 v42, 0x3e9e377a, v60
	v_fmac_f32_e32 v56, 0x3e9e377a, v62
	v_fmac_f32_e32 v58, 0x3e9e377a, v62
	v_fmac_f32_e32 v57, 0x3e9e377a, v63
	v_fmac_f32_e32 v59, 0x3e9e377a, v63
	v_fmac_f32_e32 v64, 0x3e9e377a, v50
	v_fmac_f32_e32 v65, 0x3e9e377a, v60
	ds_write2_b64 v114, v[43:44], v[37:38] offset1:10
	ds_write2_b64 v114, v[39:40], v[35:36] offset0:20 offset1:30
	ds_write_b64 v114, v[33:34] offset:320
	ds_write2_b64 v113, v[45:46], v[41:42] offset1:10
	ds_write2_b64 v113, v[56:57], v[58:59] offset0:20 offset1:30
	ds_write_b64 v113, v[64:65] offset:320
	s_waitcnt lgkmcnt(0)
	s_barrier
	buffer_gl0_inv
	ds_read_b64 v[101:102], v106 offset:12000
	ds_read2_b64 v[72:75], v54 offset0:4 offset1:254
	ds_read2_b64 v[68:71], v55 offset1:250
	ds_read2_b64 v[60:63], v106 offset1:250
                                        ; implicit-def: $vgpr103
                                        ; implicit-def: $vgpr78
	s_and_saveexec_b32 s0, vcc_lo
	s_cbranch_execz .LBB0_3
; %bb.2:
	v_add_nc_u32_e32 v32, 0x560, v106
	v_add_nc_u32_e32 v33, 0x1500, v106
	;; [unrolled: 1-line block ×3, first 2 shown]
	ds_read2_b64 v[56:59], v32 offset0:3 offset1:253
	ds_read2_b64 v[64:67], v33 offset0:3 offset1:253
	;; [unrolled: 1-line block ×3, first 2 shown]
	ds_read_b64 v[103:104], v106 offset:13400
.LBB0_3:
	s_or_b32 exec_lo, exec_lo, s0
	v_and_b32_e32 v32, 0xff, v105
	v_lshrrev_b16 v33, 1, v116
	v_mov_b32_e32 v34, 0x147b
	v_mov_b32_e32 v118, 0x15e
	v_add_nc_u32_e32 v119, 0x15e0, v115
	v_mul_lo_u16 v32, v32, 41
	v_lshrrev_b16 v117, 11, v32
	v_mul_u32_u24_sdwa v32, v33, v34 dst_sel:DWORD dst_unused:UNUSED_PAD src0_sel:WORD_0 src1_sel:DWORD
	v_mul_lo_u16 v33, v117, 50
	v_lshrrev_b32_e32 v111, 17, v32
	v_mul_u32_u24_sdwa v121, v117, v118 dst_sel:DWORD dst_unused:UNUSED_PAD src0_sel:WORD_0 src1_sel:DWORD
	v_add_nc_u32_e32 v118, 0x20d0, v115
	v_add_nc_u32_e32 v117, 0x2bc0, v115
	v_sub_nc_u16 v32, v105, v33
	v_mul_lo_u16 v33, v111, 50
	v_and_b32_e32 v120, 0xff, v32
	v_sub_nc_u16 v112, v116, v33
	v_mad_u64_u32 v[32:33], null, v120, 48, s[14:15]
	v_mul_lo_u16 v34, v112, 48
	v_add_lshl_u32 v115, v121, v120, 3
	s_clause 0x1
	global_load_dwordx4 v[52:55], v[32:33], off offset:384
	global_load_dwordx4 v[44:47], v[32:33], off offset:400
	v_and_b32_e32 v34, 0xffff, v34
	v_add_co_u32 v40, s0, s14, v34
	v_add_co_ci_u32_e64 v41, null, s15, 0, s0
	s_clause 0x3
	global_load_dwordx4 v[48:51], v[32:33], off offset:416
	global_load_dwordx4 v[36:39], v[40:41], off offset:384
	;; [unrolled: 1-line block ×4, first 2 shown]
	s_waitcnt vmcnt(0) lgkmcnt(0)
	s_barrier
	buffer_gl0_inv
	v_mul_f32_e32 v120, v63, v53
	v_mul_f32_e32 v121, v62, v53
	;; [unrolled: 1-line block ×8, first 2 shown]
	v_fma_f32 v62, v62, v52, -v120
	v_fmac_f32_e32 v121, v63, v52
	v_mul_f32_e32 v128, v71, v49
	v_mul_f32_e32 v129, v70, v49
	;; [unrolled: 1-line block ×16, first 2 shown]
	v_fma_f32 v63, v72, v54, -v122
	v_fmac_f32_e32 v123, v73, v54
	v_fma_f32 v72, v74, v44, -v124
	v_fmac_f32_e32 v125, v75, v44
	;; [unrolled: 2-line block ×11, first 2 shown]
	v_add_f32_e32 v71, v62, v70
	v_add_f32_e32 v73, v121, v131
	v_sub_f32_e32 v62, v62, v70
	v_sub_f32_e32 v70, v121, v131
	v_add_f32_e32 v74, v63, v69
	v_add_f32_e32 v75, v123, v129
	v_sub_f32_e32 v63, v63, v69
	v_sub_f32_e32 v69, v123, v129
	v_add_f32_e32 v76, v72, v68
	v_sub_f32_e32 v68, v68, v72
	v_sub_f32_e32 v72, v127, v125
	v_add_f32_e32 v78, v58, v67
	v_add_f32_e32 v79, v133, v143
	;; [unrolled: 1-line block ×5, first 2 shown]
	v_sub_f32_e32 v58, v58, v67
	v_sub_f32_e32 v67, v133, v143
	;; [unrolled: 1-line block ×4, first 2 shown]
	v_add_f32_e32 v103, v64, v65
	v_add_f32_e32 v104, v137, v139
	v_sub_f32_e32 v64, v65, v64
	v_sub_f32_e32 v65, v139, v137
	v_add_f32_e32 v120, v74, v71
	v_add_f32_e32 v121, v75, v73
	;; [unrolled: 1-line block ×4, first 2 shown]
	v_sub_f32_e32 v126, v68, v63
	v_sub_f32_e32 v127, v72, v69
	;; [unrolled: 1-line block ×3, first 2 shown]
	v_add_f32_e32 v128, v101, v78
	v_add_f32_e32 v129, v102, v79
	v_sub_f32_e32 v122, v74, v71
	v_sub_f32_e32 v123, v75, v73
	;; [unrolled: 1-line block ×15, first 2 shown]
	v_add_f32_e32 v132, v64, v59
	v_add_f32_e32 v133, v65, v66
	v_sub_f32_e32 v134, v64, v59
	v_sub_f32_e32 v135, v65, v66
	;; [unrolled: 1-line block ×4, first 2 shown]
	v_add_f32_e32 v76, v76, v120
	v_add_f32_e32 v77, v77, v121
	;; [unrolled: 1-line block ×3, first 2 shown]
	v_mul_f32_e32 v121, 0xbf08b237, v126
	v_mul_f32_e32 v124, 0xbf08b237, v127
	;; [unrolled: 1-line block ×3, first 2 shown]
	v_add_f32_e32 v103, v103, v128
	v_add_f32_e32 v104, v104, v129
	v_sub_f32_e32 v64, v58, v64
	v_sub_f32_e32 v65, v67, v65
	v_add_f32_e32 v70, v125, v70
	v_mul_f32_e32 v59, 0x3f4a47b2, v71
	v_mul_f32_e32 v71, 0x3f4a47b2, v73
	;; [unrolled: 1-line block ×5, first 2 shown]
	v_add_f32_e32 v127, v132, v58
	v_add_f32_e32 v128, v133, v67
	v_mul_f32_e32 v58, 0x3f4a47b2, v78
	v_mul_f32_e32 v78, 0x3f4a47b2, v79
	;; [unrolled: 1-line block ×8, first 2 shown]
	v_add_f32_e32 v66, v60, v76
	v_add_f32_e32 v67, v61, v77
	v_fmamk_f32 v138, v72, 0x3eae86e6, v124
	v_fma_f32 v124, 0x3f5ff5aa, v69, -v124
	v_fma_f32 v126, 0xbeae86e6, v72, -v126
	v_add_f32_e32 v56, v56, v103
	v_add_f32_e32 v57, v57, v104
	v_fmamk_f32 v74, v74, 0x3d64c772, v59
	v_fmamk_f32 v75, v75, 0x3d64c772, v71
	v_fma_f32 v73, 0x3f3bfb3b, v122, -v73
	v_fma_f32 v120, 0x3f3bfb3b, v123, -v120
	;; [unrolled: 1-line block ×4, first 2 shown]
	v_fmamk_f32 v123, v68, 0x3eae86e6, v121
	v_fma_f32 v121, 0x3f5ff5aa, v63, -v121
	v_fma_f32 v125, 0xbeae86e6, v68, -v125
	v_fmamk_f32 v63, v101, 0x3d64c772, v58
	v_fmamk_f32 v68, v102, 0x3d64c772, v78
	v_fma_f32 v69, 0x3f3bfb3b, v130, -v79
	v_fma_f32 v72, 0x3f3bfb3b, v131, -v129
	;; [unrolled: 1-line block ×4, first 2 shown]
	v_fmamk_f32 v58, v64, 0x3eae86e6, v132
	v_fmamk_f32 v59, v65, 0x3eae86e6, v133
	v_fma_f32 v101, 0x3f5ff5aa, v136, -v132
	v_fma_f32 v102, 0x3f5ff5aa, v137, -v133
	;; [unrolled: 1-line block ×4, first 2 shown]
	v_fmamk_f32 v64, v76, 0xbf955555, v66
	v_fmamk_f32 v65, v77, 0xbf955555, v67
	v_fmac_f32_e32 v138, 0x3ee1c552, v70
	v_fmac_f32_e32 v124, 0x3ee1c552, v70
	;; [unrolled: 1-line block ×3, first 2 shown]
	v_fmamk_f32 v70, v103, 0xbf955555, v56
	v_fmamk_f32 v76, v104, 0xbf955555, v57
	v_fmac_f32_e32 v123, 0x3ee1c552, v62
	v_fmac_f32_e32 v121, 0x3ee1c552, v62
	;; [unrolled: 1-line block ×9, first 2 shown]
	v_add_f32_e32 v74, v74, v64
	v_add_f32_e32 v75, v75, v65
	;; [unrolled: 1-line block ×13, first 2 shown]
	v_sub_f32_e32 v69, v75, v123
	v_sub_f32_e32 v71, v122, v125
	;; [unrolled: 1-line block ×3, first 2 shown]
	v_add_f32_e32 v73, v121, v104
	v_add_f32_e32 v103, v124, v77
	v_sub_f32_e32 v104, v104, v121
	v_add_f32_e32 v121, v125, v122
	v_sub_f32_e32 v122, v74, v138
	;; [unrolled: 2-line block ×3, first 2 shown]
	v_add_f32_e32 v75, v101, v128
	v_add_f32_e32 v76, v102, v127
	v_sub_f32_e32 v77, v128, v101
	v_sub_f32_e32 v78, v64, v60
	v_add_f32_e32 v79, v61, v65
	v_sub_f32_e32 v101, v62, v59
	v_add_f32_e32 v102, v58, v63
	v_add_f32_e32 v70, v126, v120
	v_sub_f32_e32 v120, v120, v126
	ds_write2_b64 v115, v[66:67], v[68:69] offset1:50
	ds_write2_b64 v115, v[70:71], v[72:73] offset0:100 offset1:150
	ds_write2_b64 v115, v[103:104], v[120:121] offset0:200 offset1:250
	ds_write_b64 v115, v[122:123] offset:2400
	s_and_saveexec_b32 s0, vcc_lo
	s_cbranch_execz .LBB0_5
; %bb.4:
	v_mad_u16 v66, 0x15e, v111, v112
	v_mov_b32_e32 v67, 3
	v_sub_f32_e32 v63, v63, v58
	v_add_f32_e32 v62, v59, v62
	v_sub_f32_e32 v61, v65, v61
	v_add_f32_e32 v60, v60, v64
	v_lshlrev_b32_sdwa v58, v67, v66 dst_sel:DWORD dst_unused:UNUSED_PAD src0_sel:DWORD src1_sel:WORD_0
	ds_write2_b64 v58, v[56:57], v[62:63] offset1:50
	ds_write2_b64 v58, v[60:61], v[74:75] offset0:100 offset1:150
	ds_write2_b64 v58, v[76:77], v[78:79] offset0:200 offset1:250
	ds_write_b64 v58, v[101:102] offset:2400
.LBB0_5:
	s_or_b32 exec_lo, exec_lo, s0
	v_lshlrev_b32_e32 v56, 5, v105
	v_lshlrev_b32_e32 v60, 5, v116
	s_waitcnt lgkmcnt(0)
	s_barrier
	buffer_gl0_inv
	v_add_co_u32 v58, s0, s14, v56
	v_add_co_ci_u32_e64 v59, null, s15, 0, s0
	v_add_nc_u32_e32 v104, 0xa00, v106
	v_add_co_u32 v56, s0, 0xae0, v58
	v_add_co_ci_u32_e64 v57, s0, 0, v59, s0
	v_add_co_u32 v58, s0, 0x800, v58
	v_add_co_ci_u32_e64 v59, s0, 0, v59, s0
	v_add_co_u32 v68, s0, s14, v60
	v_add_co_ci_u32_e64 v69, null, s15, 0, s0
	s_clause 0x1
	global_load_dwordx4 v[64:67], v[58:59], off offset:736
	global_load_dwordx4 v[60:63], v[56:57], off offset:16
	v_add_co_u32 v56, s0, 0x800, v68
	v_add_co_ci_u32_e64 v57, s0, 0, v69, s0
	v_add_co_u32 v58, s0, 0xae0, v68
	v_add_co_ci_u32_e64 v59, s0, 0, v69, s0
	s_clause 0x1
	global_load_dwordx4 v[68:71], v[56:57], off offset:736
	global_load_dwordx4 v[56:59], v[58:59], off offset:16
	v_add_nc_u32_e32 v103, 0x1400, v106
	v_add_nc_u32_e32 v73, 0x2000, v106
	;; [unrolled: 1-line block ×3, first 2 shown]
	ds_read2_b64 v[120:123], v104 offset0:30 offset1:205
	ds_read2_b64 v[124:127], v103 offset0:60 offset1:235
	;; [unrolled: 1-line block ×4, first 2 shown]
	ds_read2_b64 v[136:139], v106 offset1:175
	v_lshlrev_b32_e32 v116, 3, v105
	v_add_co_u32 v116, s0, s12, v116
	v_add_co_ci_u32_e64 v150, null, s13, 0, s0
	v_add_co_u32 v140, s0, 0x3000, v116
	v_add_co_ci_u32_e64 v141, s0, 0, v150, s0
	s_waitcnt vmcnt(3) lgkmcnt(4)
	v_mul_f32_e32 v142, v121, v65
	v_mul_f32_e32 v143, v120, v65
	s_waitcnt lgkmcnt(3)
	v_mul_f32_e32 v144, v125, v67
	v_mul_f32_e32 v145, v124, v67
	s_waitcnt vmcnt(2) lgkmcnt(2)
	v_mul_f32_e32 v146, v129, v61
	v_mul_f32_e32 v147, v128, v61
	s_waitcnt lgkmcnt(1)
	v_mul_f32_e32 v148, v133, v63
	v_mul_f32_e32 v149, v132, v63
	v_fma_f32 v120, v120, v64, -v142
	v_fmac_f32_e32 v143, v121, v64
	v_fma_f32 v121, v124, v66, -v144
	s_waitcnt vmcnt(1)
	v_mul_f32_e32 v151, v123, v69
	v_mul_f32_e32 v153, v127, v71
	v_mul_f32_e32 v154, v126, v71
	s_waitcnt vmcnt(0)
	v_mul_f32_e32 v155, v131, v57
	v_mul_f32_e32 v156, v130, v57
	;; [unrolled: 1-line block ×5, first 2 shown]
	v_fmac_f32_e32 v145, v125, v66
	v_fma_f32 v128, v128, v60, -v146
	v_fmac_f32_e32 v147, v129, v60
	v_fma_f32 v142, v132, v62, -v148
	;; [unrolled: 2-line block ×3, first 2 shown]
	v_fma_f32 v124, v126, v70, -v153
	v_fmac_f32_e32 v154, v127, v70
	v_fma_f32 v130, v130, v56, -v155
	v_fmac_f32_e32 v156, v131, v56
	v_fmac_f32_e32 v152, v123, v68
	v_fma_f32 v144, v134, v58, -v157
	v_fmac_f32_e32 v158, v135, v58
	s_waitcnt lgkmcnt(0)
	v_add_f32_e32 v123, v136, v120
	v_add_f32_e32 v125, v121, v128
	v_sub_f32_e32 v126, v120, v121
	v_sub_f32_e32 v127, v142, v128
	v_add_f32_e32 v133, v137, v143
	v_add_f32_e32 v134, v145, v147
	;; [unrolled: 1-line block ×4, first 2 shown]
	v_sub_f32_e32 v131, v121, v120
	v_sub_f32_e32 v132, v128, v142
	v_add_f32_e32 v160, v138, v122
	v_add_f32_e32 v161, v124, v130
	;; [unrolled: 1-line block ×3, first 2 shown]
	v_sub_f32_e32 v135, v143, v149
	v_sub_f32_e32 v148, v120, v142
	;; [unrolled: 1-line block ×3, first 2 shown]
	v_add_f32_e32 v166, v122, v144
	v_add_f32_e32 v169, v139, v152
	;; [unrolled: 1-line block ×4, first 2 shown]
	v_fma_f32 v120, -0.5, v125, v136
	v_add_f32_e32 v178, v126, v127
	v_add_f32_e32 v127, v133, v145
	v_fma_f32 v121, -0.5, v134, v137
	v_sub_f32_e32 v146, v145, v147
	v_sub_f32_e32 v164, v122, v124
	;; [unrolled: 1-line block ×4, first 2 shown]
	v_fma_f32 v122, -0.5, v129, v136
	v_fma_f32 v123, -0.5, v157, v137
	v_sub_f32_e32 v162, v152, v158
	v_sub_f32_e32 v172, v124, v130
	v_add_f32_e32 v179, v131, v132
	v_add_f32_e32 v131, v160, v124
	v_fma_f32 v124, -0.5, v161, v138
	v_fma_f32 v125, -0.5, v170, v139
	v_sub_f32_e32 v153, v143, v145
	v_sub_f32_e32 v155, v149, v147
	v_sub_f32_e32 v163, v154, v156
	v_fma_f32 v138, -0.5, v166, v138
	v_add_f32_e32 v133, v169, v154
	v_fmac_f32_e32 v139, -0.5, v175
	v_fmamk_f32 v126, v135, 0x3f737871, v120
	v_add_f32_e32 v136, v127, v147
	v_fmamk_f32 v127, v148, 0xbf737871, v121
	v_sub_f32_e32 v143, v145, v143
	v_sub_f32_e32 v159, v147, v149
	v_add_f32_e32 v134, v177, v128
	v_fmamk_f32 v128, v146, 0xbf737871, v122
	v_fmamk_f32 v129, v151, 0x3f737871, v123
	v_fmac_f32_e32 v122, 0x3f737871, v146
	v_fmac_f32_e32 v123, 0xbf737871, v151
	v_fmac_f32_e32 v120, 0xbf737871, v135
	v_fmac_f32_e32 v121, 0x3f737871, v148
	v_sub_f32_e32 v165, v144, v130
	v_sub_f32_e32 v168, v130, v144
	;; [unrolled: 1-line block ×4, first 2 shown]
	v_add_f32_e32 v137, v131, v130
	v_fmamk_f32 v130, v162, 0x3f737871, v124
	v_fmac_f32_e32 v124, 0xbf737871, v162
	v_fmamk_f32 v131, v171, 0xbf737871, v125
	v_fmac_f32_e32 v125, 0x3f737871, v171
	v_sub_f32_e32 v152, v154, v152
	v_sub_f32_e32 v176, v156, v158
	v_add_f32_e32 v145, v153, v155
	v_fmamk_f32 v132, v163, 0xbf737871, v138
	v_fmac_f32_e32 v138, 0x3f737871, v163
	v_add_f32_e32 v147, v133, v156
	v_fmamk_f32 v133, v172, 0x3f737871, v139
	v_fmac_f32_e32 v139, 0xbf737871, v172
	v_fmac_f32_e32 v126, 0x3f167918, v146
	;; [unrolled: 1-line block ×3, first 2 shown]
	v_add_f32_e32 v143, v143, v159
	v_fmac_f32_e32 v128, 0x3f167918, v135
	v_fmac_f32_e32 v129, 0xbf167918, v148
	;; [unrolled: 1-line block ×6, first 2 shown]
	v_add_f32_e32 v153, v164, v165
	v_add_f32_e32 v154, v173, v174
	v_fmac_f32_e32 v124, 0xbf167918, v163
	v_fmac_f32_e32 v125, 0x3f167918, v172
	v_add_f32_e32 v155, v167, v168
	v_add_f32_e32 v152, v152, v176
	v_fmac_f32_e32 v130, 0x3f167918, v163
	v_fmac_f32_e32 v132, 0x3f167918, v162
	;; [unrolled: 1-line block ×14, first 2 shown]
	v_add_f32_e32 v134, v134, v142
	v_add_f32_e32 v135, v136, v149
	v_add_f32_e32 v136, v137, v144
	v_add_f32_e32 v137, v147, v158
	v_fmac_f32_e32 v124, 0x3e9e377a, v153
	v_fmac_f32_e32 v125, 0x3e9e377a, v154
	v_fmac_f32_e32 v130, 0x3e9e377a, v153
	v_fmac_f32_e32 v132, 0x3e9e377a, v155
	v_fmac_f32_e32 v138, 0x3e9e377a, v155
	v_fmac_f32_e32 v131, 0x3e9e377a, v154
	v_fmac_f32_e32 v133, 0x3e9e377a, v152
	v_fmac_f32_e32 v139, 0x3e9e377a, v152
	ds_write_b64 v106, v[126:127] offset:2800
	ds_write_b64 v106, v[128:129] offset:5600
	;; [unrolled: 1-line block ×4, first 2 shown]
	ds_write2_b64 v106, v[134:135], v[136:137] offset1:175
	ds_write_b64 v106, v[130:131] offset:4200
	ds_write_b64 v106, v[132:133] offset:7000
	;; [unrolled: 1-line block ×4, first 2 shown]
	s_waitcnt lgkmcnt(0)
	s_barrier
	buffer_gl0_inv
	global_load_dwordx2 v[124:125], v[140:141], off offset:1712
	v_add_co_u32 v120, s0, 0x36b0, v116
	v_add_co_ci_u32_e64 v121, s0, 0, v150, s0
	v_add_co_u32 v122, s1, 0x5000, v116
	v_add_co_u32 v126, s2, 0x4000, v116
	global_load_dwordx2 v[140:141], v[120:121], off offset:1400
	v_add_co_ci_u32_e64 v123, s1, 0, v150, s1
	v_add_co_u32 v128, s3, 0x5800, v116
	v_add_co_ci_u32_e64 v127, s1, 0, v150, s2
	v_add_co_u32 v130, s0, 0x6000, v116
	;; [unrolled: 2-line block ×3, first 2 shown]
	s_clause 0x1
	global_load_dwordx2 v[142:143], v[122:123], off offset:520
	global_load_dwordx2 v[144:145], v[122:123], off offset:1920
	v_add_co_ci_u32_e64 v131, s0, 0, v150, s0
	v_add_co_ci_u32_e64 v133, s0, 0, v150, s4
	s_clause 0x5
	global_load_dwordx2 v[146:147], v[126:127], off offset:416
	global_load_dwordx2 v[148:149], v[128:129], off offset:1272
	;; [unrolled: 1-line block ×6, first 2 shown]
	ds_read2_b64 v[120:123], v106 offset1:175
	v_add_nc_u32_e32 v158, 0x400, v106
	v_add_nc_u32_e32 v159, 0x2400, v106
	;; [unrolled: 1-line block ×3, first 2 shown]
	s_waitcnt vmcnt(9) lgkmcnt(0)
	v_mul_f32_e32 v116, v121, v125
	v_mul_f32_e32 v126, v120, v125
	v_fma_f32 v125, v120, v124, -v116
	v_fmac_f32_e32 v126, v121, v124
	v_add_nc_u32_e32 v116, 0x1a00, v106
	s_waitcnt vmcnt(8)
	v_mul_f32_e32 v120, v123, v141
	v_mul_f32_e32 v121, v122, v141
	ds_write_b64 v106, v[125:126]
	ds_read2_b64 v[124:127], v103 offset0:60 offset1:235
	ds_read2_b64 v[128:131], v73 offset0:26 offset1:201
	;; [unrolled: 1-line block ×4, first 2 shown]
	v_fma_f32 v120, v122, v140, -v120
	v_fmac_f32_e32 v121, v123, v140
	s_waitcnt vmcnt(7) lgkmcnt(3)
	v_mul_f32_e32 v122, v127, v143
	v_mul_f32_e32 v123, v126, v143
	s_waitcnt vmcnt(6) lgkmcnt(2)
	v_mul_f32_e32 v140, v129, v145
	v_mul_f32_e32 v141, v128, v145
	s_waitcnt vmcnt(5) lgkmcnt(1)
	v_mul_f32_e32 v161, v133, v147
	v_mul_f32_e32 v143, v132, v147
	s_waitcnt vmcnt(4)
	v_mul_f32_e32 v162, v131, v149
	v_mul_f32_e32 v145, v130, v149
	s_waitcnt vmcnt(2) lgkmcnt(0)
	v_mul_f32_e32 v164, v137, v153
	v_mul_f32_e32 v149, v136, v153
	;; [unrolled: 1-line block ×4, first 2 shown]
	s_waitcnt vmcnt(1)
	v_mul_f32_e32 v165, v125, v155
	v_mul_f32_e32 v151, v124, v155
	s_waitcnt vmcnt(0)
	v_mul_f32_e32 v155, v139, v157
	v_mul_f32_e32 v153, v138, v157
	v_fma_f32 v122, v126, v142, -v122
	v_fmac_f32_e32 v123, v127, v142
	v_fma_f32 v140, v128, v144, -v140
	v_fmac_f32_e32 v141, v129, v144
	;; [unrolled: 2-line block ×8, first 2 shown]
	ds_write2_b64 v116, v[122:123], v[140:141] offset0:43 offset1:218
	ds_write2_b64 v158, v[120:121], v[142:143] offset0:47 offset1:222
	;; [unrolled: 1-line block ×4, first 2 shown]
	ds_write_b64 v106, v[152:153] offset:12600
	s_waitcnt lgkmcnt(0)
	s_barrier
	buffer_gl0_inv
	ds_read2_b64 v[120:123], v106 offset1:175
	ds_read2_b64 v[124:127], v103 offset0:60 offset1:235
	ds_read2_b64 v[128:131], v73 offset0:26 offset1:201
	;; [unrolled: 1-line block ×4, first 2 shown]
	s_waitcnt lgkmcnt(0)
	s_barrier
	buffer_gl0_inv
	v_sub_f32_e32 v140, v120, v126
	v_sub_f32_e32 v141, v121, v127
	;; [unrolled: 1-line block ×10, first 2 shown]
	v_fma_f32 v138, v120, 2.0, -v140
	v_fma_f32 v139, v121, 2.0, -v141
	;; [unrolled: 1-line block ×10, first 2 shown]
	ds_write_b128 v108, v[138:141]
	ds_write_b128 v107, v[126:129]
	;; [unrolled: 1-line block ×5, first 2 shown]
	s_waitcnt lgkmcnt(0)
	s_barrier
	buffer_gl0_inv
	ds_read2_b64 v[116:119], v104 offset0:30 offset1:205
	ds_read2_b64 v[120:123], v103 offset0:60 offset1:235
	;; [unrolled: 1-line block ×4, first 2 shown]
	ds_read2_b64 v[132:135], v106 offset1:175
	s_waitcnt lgkmcnt(0)
	s_barrier
	buffer_gl0_inv
	v_mul_f32_e32 v107, v5, v117
	v_mul_f32_e32 v5, v5, v116
	;; [unrolled: 1-line block ×16, first 2 shown]
	v_fmac_f32_e32 v107, v4, v116
	v_fma_f32 v4, v4, v117, -v5
	v_fmac_f32_e32 v108, v6, v120
	v_fma_f32 v5, v6, v121, -v7
	;; [unrolled: 2-line block ×8, first 2 shown]
	v_add_f32_e32 v1, v132, v107
	v_add_f32_e32 v2, v108, v136
	;; [unrolled: 1-line block ×5, first 2 shown]
	v_sub_f32_e32 v3, v107, v108
	v_sub_f32_e32 v8, v137, v136
	v_add_f32_e32 v122, v4, v15
	v_sub_f32_e32 v117, v4, v15
	v_sub_f32_e32 v10, v108, v107
	;; [unrolled: 1-line block ×7, first 2 shown]
	v_add_f32_e32 v124, v134, v138
	v_add_f32_e32 v125, v139, v140
	;; [unrolled: 1-line block ×6, first 2 shown]
	v_sub_f32_e32 v107, v107, v137
	v_sub_f32_e32 v119, v108, v136
	;; [unrolled: 1-line block ×5, first 2 shown]
	v_add_f32_e32 v108, v1, v108
	v_fma_f32 v0, -0.5, v2, v132
	v_fma_f32 v2, -0.5, v9, v132
	v_add_f32_e32 v9, v12, v5
	v_fma_f32 v1, -0.5, v14, v133
	v_sub_f32_e32 v118, v5, v7
	v_add_f32_e32 v151, v3, v8
	v_fma_f32 v3, -0.5, v122, v133
	v_sub_f32_e32 v128, v138, v139
	v_sub_f32_e32 v129, v141, v140
	;; [unrolled: 1-line block ×4, first 2 shown]
	v_add_f32_e32 v132, v10, v11
	v_add_f32_e32 v120, v120, v121
	;; [unrolled: 1-line block ×4, first 2 shown]
	v_fma_f32 v4, -0.5, v125, v134
	v_add_f32_e32 v11, v143, v6
	v_fma_f32 v5, -0.5, v144, v135
	v_sub_f32_e32 v127, v6, v13
	v_sub_f32_e32 v145, v139, v140
	v_fma_f32 v134, -0.5, v130, v134
	v_fmac_f32_e32 v135, -0.5, v148
	v_add_f32_e32 v14, v108, v136
	v_fmamk_f32 v6, v117, 0xbf737871, v0
	v_add_f32_e32 v108, v9, v7
	v_fmamk_f32 v7, v107, 0x3f737871, v1
	v_fmamk_f32 v8, v118, 0x3f737871, v2
	v_fmac_f32_e32 v2, 0xbf737871, v118
	v_fmamk_f32 v9, v119, 0xbf737871, v3
	v_fmac_f32_e32 v3, 0x3f737871, v119
	v_fmac_f32_e32 v0, 0x3f737871, v117
	;; [unrolled: 1-line block ×3, first 2 shown]
	v_sub_f32_e32 v147, v116, v13
	v_add_f32_e32 v122, v128, v129
	v_add_f32_e32 v128, v10, v140
	v_fmamk_f32 v10, v126, 0xbf737871, v4
	v_add_f32_e32 v129, v11, v13
	v_fmamk_f32 v11, v138, 0x3f737871, v5
	v_sub_f32_e32 v142, v140, v141
	v_sub_f32_e32 v150, v13, v116
	v_fmac_f32_e32 v4, 0x3f737871, v126
	v_fmamk_f32 v12, v127, 0x3f737871, v134
	v_fmac_f32_e32 v134, 0xbf737871, v127
	v_fmac_f32_e32 v5, 0xbf737871, v138
	v_fmamk_f32 v13, v145, 0xbf737871, v135
	v_fmac_f32_e32 v135, 0x3f737871, v145
	v_fmac_f32_e32 v6, 0xbf167918, v118
	;; [unrolled: 1-line block ×9, first 2 shown]
	v_add_f32_e32 v124, v146, v147
	v_fmac_f32_e32 v10, 0xbf167918, v127
	v_fmac_f32_e32 v11, 0x3f167918, v145
	v_add_f32_e32 v123, v131, v142
	v_add_f32_e32 v125, v149, v150
	v_fmac_f32_e32 v4, 0x3f167918, v127
	v_fmac_f32_e32 v12, 0xbf167918, v126
	;; [unrolled: 1-line block ×6, first 2 shown]
	v_add_f32_e32 v14, v14, v137
	v_add_f32_e32 v15, v108, v15
	v_fmac_f32_e32 v6, 0x3e9e377a, v151
	v_fmac_f32_e32 v7, 0x3e9e377a, v120
	;; [unrolled: 1-line block ×8, first 2 shown]
	v_add_f32_e32 v107, v128, v141
	v_add_f32_e32 v108, v129, v116
	v_fmac_f32_e32 v10, 0x3e9e377a, v122
	v_fmac_f32_e32 v11, 0x3e9e377a, v124
	v_fmac_f32_e32 v4, 0x3e9e377a, v122
	v_fmac_f32_e32 v12, 0x3e9e377a, v123
	v_fmac_f32_e32 v134, 0x3e9e377a, v123
	v_fmac_f32_e32 v5, 0x3e9e377a, v124
	v_fmac_f32_e32 v13, 0x3e9e377a, v125
	v_fmac_f32_e32 v135, 0x3e9e377a, v125
	ds_write2_b64 v110, v[14:15], v[6:7] offset1:2
	ds_write2_b64 v110, v[8:9], v[2:3] offset0:4 offset1:6
	ds_write_b64 v110, v[0:1] offset:64
	ds_write2_b64 v109, v[107:108], v[10:11] offset1:2
	ds_write2_b64 v109, v[12:13], v[134:135] offset0:4 offset1:6
	ds_write_b64 v109, v[4:5] offset:64
	s_waitcnt lgkmcnt(0)
	s_barrier
	buffer_gl0_inv
	ds_read2_b64 v[4:7], v104 offset0:30 offset1:205
	ds_read2_b64 v[8:11], v103 offset0:60 offset1:235
	;; [unrolled: 1-line block ×4, first 2 shown]
	ds_read2_b64 v[0:3], v106 offset1:175
	v_add_nc_u32_e32 v103, 0xf80, v106
	v_add_nc_u32_e32 v104, 0x1f40, v106
	s_waitcnt lgkmcnt(0)
	s_barrier
	buffer_gl0_inv
	v_mul_f32_e32 v72, v17, v5
	v_mul_f32_e32 v17, v17, v4
	v_mul_f32_e32 v73, v19, v9
	v_mul_f32_e32 v19, v19, v8
	v_mul_f32_e32 v116, v29, v13
	v_mul_f32_e32 v29, v29, v12
	v_mul_f32_e32 v117, v31, v108
	v_mul_f32_e32 v31, v31, v107
	v_mul_f32_e32 v118, v21, v7
	v_mul_f32_e32 v21, v21, v6
	v_mul_f32_e32 v119, v23, v11
	v_mul_f32_e32 v23, v23, v10
	v_mul_f32_e32 v120, v25, v15
	v_mul_f32_e32 v25, v25, v14
	v_mul_f32_e32 v121, v27, v110
	v_mul_f32_e32 v27, v27, v109
	v_fmac_f32_e32 v72, v16, v4
	v_fma_f32 v4, v16, v5, -v17
	v_fmac_f32_e32 v73, v18, v8
	v_fma_f32 v5, v18, v9, -v19
	;; [unrolled: 2-line block ×8, first 2 shown]
	v_add_f32_e32 v10, v73, v116
	v_add_f32_e32 v14, v72, v117
	;; [unrolled: 1-line block ×12, first 2 shown]
	v_sub_f32_e32 v15, v4, v16
	v_sub_f32_e32 v18, v5, v9
	;; [unrolled: 1-line block ×9, first 2 shown]
	v_fma_f32 v4, -0.5, v10, v0
	v_fma_f32 v6, -0.5, v14, v0
	v_add_f32_e32 v0, v21, v5
	v_fma_f32 v5, -0.5, v22, v1
	v_sub_f32_e32 v11, v72, v73
	v_sub_f32_e32 v12, v117, v116
	;; [unrolled: 1-line block ×3, first 2 shown]
	v_add_f32_e32 v133, v7, v73
	v_fma_f32 v7, -0.5, v27, v1
	v_sub_f32_e32 v19, v73, v72
	v_sub_f32_e32 v109, v118, v119
	;; [unrolled: 1-line block ×4, first 2 shown]
	v_fma_f32 v72, -0.5, v31, v2
	v_add_f32_e32 v14, v125, v8
	v_fma_f32 v73, -0.5, v126, v3
	v_sub_f32_e32 v108, v8, v13
	v_sub_f32_e32 v127, v119, v120
	v_add_f32_e32 v1, v30, v119
	v_fma_f32 v2, -0.5, v122, v2
	v_fmac_f32_e32 v3, -0.5, v130
	v_sub_f32_e32 v20, v116, v117
	v_sub_f32_e32 v26, v16, v9
	v_add_f32_e32 v21, v28, v29
	v_fmamk_f32 v8, v15, 0xbf737871, v4
	v_add_f32_e32 v29, v0, v9
	v_fmamk_f32 v9, v23, 0x3f737871, v5
	;; [unrolled: 2-line block ×3, first 2 shown]
	v_fmac_f32_e32 v6, 0xbf737871, v18
	v_fmamk_f32 v11, v24, 0xbf737871, v7
	v_fmac_f32_e32 v7, 0x3f737871, v24
	v_fmac_f32_e32 v4, 0x3f737871, v15
	;; [unrolled: 1-line block ×3, first 2 shown]
	v_sub_f32_e32 v110, v121, v120
	v_sub_f32_e32 v129, v17, v13
	;; [unrolled: 1-line block ×3, first 2 shown]
	v_fmamk_f32 v12, v107, 0xbf737871, v72
	v_add_f32_e32 v31, v14, v13
	v_fmamk_f32 v13, v118, 0x3f737871, v73
	v_sub_f32_e32 v124, v120, v121
	v_add_f32_e32 v30, v1, v120
	v_fmamk_f32 v0, v108, 0x3f737871, v2
	v_fmac_f32_e32 v2, 0xbf737871, v108
	v_fmamk_f32 v1, v127, 0xbf737871, v3
	v_fmac_f32_e32 v3, 0x3f737871, v127
	v_add_f32_e32 v19, v19, v20
	v_add_f32_e32 v20, v25, v26
	;; [unrolled: 1-line block ×3, first 2 shown]
	v_fmac_f32_e32 v72, 0x3f737871, v107
	v_fmac_f32_e32 v73, 0xbf737871, v118
	;; [unrolled: 1-line block ×10, first 2 shown]
	v_add_f32_e32 v22, v109, v110
	v_add_f32_e32 v26, v128, v129
	v_fmac_f32_e32 v12, 0xbf167918, v108
	v_fmac_f32_e32 v13, 0x3f167918, v127
	v_add_f32_e32 v25, v123, v124
	v_add_f32_e32 v27, v131, v132
	v_fmac_f32_e32 v0, 0xbf167918, v107
	v_fmac_f32_e32 v2, 0x3f167918, v107
	;; [unrolled: 1-line block ×4, first 2 shown]
	v_add_f32_e32 v14, v28, v117
	v_add_f32_e32 v15, v29, v16
	v_fmac_f32_e32 v72, 0x3f167918, v108
	v_fmac_f32_e32 v73, 0xbf167918, v127
	;; [unrolled: 1-line block ×10, first 2 shown]
	v_add_f32_e32 v16, v30, v121
	v_add_f32_e32 v17, v31, v17
	v_fmac_f32_e32 v12, 0x3e9e377a, v22
	v_fmac_f32_e32 v13, 0x3e9e377a, v26
	;; [unrolled: 1-line block ×8, first 2 shown]
	ds_write2_b64 v114, v[14:15], v[8:9] offset1:10
	ds_write2_b64 v114, v[10:11], v[6:7] offset0:20 offset1:30
	ds_write_b64 v114, v[4:5] offset:320
	ds_write2_b64 v113, v[16:17], v[12:13] offset1:10
	ds_write2_b64 v113, v[0:1], v[2:3] offset0:20 offset1:30
	ds_write_b64 v113, v[72:73] offset:320
	s_waitcnt lgkmcnt(0)
	s_barrier
	buffer_gl0_inv
	ds_read2_b64 v[4:7], v106 offset1:250
	ds_read2_b64 v[12:15], v103 offset0:4 offset1:254
	ds_read2_b64 v[8:11], v104 offset1:250
	ds_read_b64 v[16:17], v106 offset:12000
	s_and_saveexec_b32 s0, vcc_lo
	s_cbranch_execz .LBB0_7
; %bb.6:
	v_add_nc_u32_e32 v0, 0x560, v106
	v_add_nc_u32_e32 v18, 0x1500, v106
	;; [unrolled: 1-line block ×3, first 2 shown]
	ds_read2_b64 v[0:3], v0 offset0:3 offset1:253
	ds_read2_b64 v[72:75], v18 offset0:3 offset1:253
	;; [unrolled: 1-line block ×3, first 2 shown]
	ds_read_b64 v[101:102], v106 offset:13400
.LBB0_7:
	s_or_b32 exec_lo, exec_lo, s0
	s_waitcnt lgkmcnt(3)
	v_mul_f32_e32 v18, v53, v7
	v_mul_f32_e32 v19, v53, v6
	s_waitcnt lgkmcnt(2)
	v_mul_f32_e32 v20, v55, v13
	v_mul_f32_e32 v21, v55, v12
	s_waitcnt lgkmcnt(1)
	v_mul_f32_e32 v22, v47, v9
	v_fmac_f32_e32 v18, v52, v6
	v_fma_f32 v6, v52, v7, -v19
	v_mul_f32_e32 v7, v45, v15
	v_mul_f32_e32 v19, v45, v14
	v_fmac_f32_e32 v20, v54, v12
	v_fma_f32 v12, v54, v13, -v21
	v_fmac_f32_e32 v22, v46, v8
	v_fmac_f32_e32 v7, v44, v14
	v_fma_f32 v13, v44, v15, -v19
	s_waitcnt lgkmcnt(0)
	v_mul_f32_e32 v14, v51, v17
	v_mul_f32_e32 v15, v51, v16
	;; [unrolled: 1-line block ×5, first 2 shown]
	v_fmac_f32_e32 v14, v50, v16
	v_fma_f32 v15, v50, v17, -v15
	v_fma_f32 v8, v46, v9, -v8
	v_fmac_f32_e32 v19, v48, v10
	v_fma_f32 v9, v48, v11, -v21
	v_add_f32_e32 v10, v18, v14
	v_add_f32_e32 v11, v6, v15
	v_sub_f32_e32 v6, v6, v15
	v_add_f32_e32 v15, v20, v19
	v_add_f32_e32 v16, v12, v9
	v_sub_f32_e32 v14, v18, v14
	v_sub_f32_e32 v17, v20, v19
	;; [unrolled: 1-line block ×3, first 2 shown]
	v_add_f32_e32 v12, v7, v22
	v_add_f32_e32 v18, v13, v8
	v_sub_f32_e32 v7, v22, v7
	v_sub_f32_e32 v8, v8, v13
	v_add_f32_e32 v13, v15, v10
	v_add_f32_e32 v19, v16, v11
	v_sub_f32_e32 v20, v15, v10
	v_sub_f32_e32 v21, v16, v11
	;; [unrolled: 1-line block ×6, first 2 shown]
	v_add_f32_e32 v22, v7, v17
	v_add_f32_e32 v23, v8, v9
	v_sub_f32_e32 v24, v7, v17
	v_sub_f32_e32 v25, v8, v9
	v_add_f32_e32 v12, v12, v13
	v_add_f32_e32 v13, v18, v19
	v_sub_f32_e32 v17, v17, v14
	v_sub_f32_e32 v9, v9, v6
	;; [unrolled: 1-line block ×4, first 2 shown]
	v_add_f32_e32 v14, v22, v14
	v_add_f32_e32 v6, v23, v6
	;; [unrolled: 1-line block ×4, first 2 shown]
	v_mul_f32_e32 v10, 0x3f4a47b2, v10
	v_mul_f32_e32 v11, 0x3f4a47b2, v11
	;; [unrolled: 1-line block ×8, first 2 shown]
	v_fmamk_f32 v12, v12, 0xbf955555, v4
	v_fmamk_f32 v13, v13, 0xbf955555, v5
	;; [unrolled: 1-line block ×4, first 2 shown]
	v_fma_f32 v18, 0x3f3bfb3b, v20, -v18
	v_fma_f32 v19, 0x3f3bfb3b, v21, -v19
	;; [unrolled: 1-line block ×4, first 2 shown]
	v_fmamk_f32 v20, v7, 0xbeae86e6, v22
	v_fmamk_f32 v21, v8, 0xbeae86e6, v23
	v_fma_f32 v17, 0xbf5ff5aa, v17, -v22
	v_fma_f32 v22, 0xbf5ff5aa, v9, -v23
	;; [unrolled: 1-line block ×4, first 2 shown]
	v_add_f32_e32 v25, v15, v12
	v_add_f32_e32 v26, v16, v13
	v_fmac_f32_e32 v20, 0xbee1c552, v14
	v_fmac_f32_e32 v21, 0xbee1c552, v6
	v_add_f32_e32 v15, v18, v12
	v_add_f32_e32 v16, v19, v13
	;; [unrolled: 1-line block ×4, first 2 shown]
	v_fmac_f32_e32 v17, 0xbee1c552, v14
	v_fmac_f32_e32 v24, 0xbee1c552, v6
	;; [unrolled: 1-line block ×4, first 2 shown]
	v_add_f32_e32 v6, v21, v25
	v_sub_f32_e32 v7, v26, v20
	v_add_f32_e32 v8, v24, v18
	v_sub_f32_e32 v9, v19, v23
	v_sub_f32_e32 v10, v15, v22
	v_add_f32_e32 v11, v17, v16
	v_add_f32_e32 v12, v22, v15
	v_sub_f32_e32 v13, v16, v17
	v_sub_f32_e32 v14, v18, v24
	v_add_f32_e32 v15, v23, v19
	v_sub_f32_e32 v16, v25, v21
	v_add_f32_e32 v17, v20, v26
	s_barrier
	buffer_gl0_inv
	ds_write2_b64 v115, v[4:5], v[6:7] offset1:50
	ds_write2_b64 v115, v[8:9], v[10:11] offset0:100 offset1:150
	ds_write2_b64 v115, v[12:13], v[14:15] offset0:200 offset1:250
	ds_write_b64 v115, v[16:17] offset:2400
	s_and_saveexec_b32 s0, vcc_lo
	s_cbranch_execz .LBB0_9
; %bb.8:
	v_mul_f32_e32 v4, v37, v3
	v_mul_f32_e32 v11, v43, v101
	;; [unrolled: 1-line block ×5, first 2 shown]
	v_fmac_f32_e32 v4, v36, v2
	v_mul_f32_e32 v2, v37, v2
	v_fma_f32 v11, v42, v102, -v11
	v_fma_f32 v13, v40, v79, -v13
	;; [unrolled: 1-line block ×3, first 2 shown]
	v_mul_f32_e32 v5, v43, v102
	v_fma_f32 v2, v36, v3, -v2
	v_mul_f32_e32 v3, v33, v74
	v_mul_f32_e32 v6, v35, v77
	;; [unrolled: 1-line block ×5, first 2 shown]
	v_fma_f32 v3, v32, v75, -v3
	v_fma_f32 v15, v34, v77, -v15
	v_add_f32_e32 v17, v11, v2
	v_add_f32_e32 v18, v13, v14
	v_fmac_f32_e32 v5, v42, v101
	v_fmac_f32_e32 v6, v34, v76
	;; [unrolled: 1-line block ×5, first 2 shown]
	v_add_f32_e32 v20, v3, v15
	v_add_f32_e32 v22, v18, v17
	v_sub_f32_e32 v10, v4, v5
	v_sub_f32_e32 v12, v6, v7
	;; [unrolled: 1-line block ×4, first 2 shown]
	v_add_f32_e32 v22, v20, v22
	v_sub_f32_e32 v20, v20, v18
	v_sub_f32_e32 v21, v10, v12
	;; [unrolled: 1-line block ×3, first 2 shown]
	v_add_f32_e32 v12, v12, v16
	v_mul_f32_e32 v23, 0x3f4a47b2, v23
	v_add_f32_e32 v1, v1, v22
	v_add_f32_e32 v4, v5, v4
	;; [unrolled: 1-line block ×4, first 2 shown]
	v_fmamk_f32 v9, v20, 0x3d64c772, v23
	v_add_f32_e32 v6, v7, v6
	v_fmamk_f32 v7, v22, 0xbf955555, v1
	v_add_f32_e32 v12, v5, v4
	v_sub_f32_e32 v13, v14, v13
	v_sub_f32_e32 v2, v2, v11
	v_sub_f32_e32 v22, v4, v6
	v_add_f32_e32 v25, v9, v7
	v_add_f32_e32 v9, v6, v12
	v_sub_f32_e32 v12, v15, v3
	v_sub_f32_e32 v10, v16, v10
	v_mul_f32_e32 v14, 0x3f4a47b2, v22
	v_mul_f32_e32 v19, 0x3f08b237, v19
	;; [unrolled: 1-line block ×3, first 2 shown]
	v_sub_f32_e32 v11, v12, v13
	v_sub_f32_e32 v22, v2, v12
	v_add_f32_e32 v12, v12, v13
	v_sub_f32_e32 v13, v13, v2
	v_sub_f32_e32 v6, v6, v5
	v_mul_f32_e32 v26, 0xbf5ff5aa, v10
	v_sub_f32_e32 v4, v5, v4
	v_add_f32_e32 v2, v12, v2
	v_sub_f32_e32 v12, v18, v17
	v_mul_f32_e32 v5, 0xbf5ff5aa, v13
	v_fmamk_f32 v24, v21, 0xbeae86e6, v19
	v_add_f32_e32 v0, v0, v9
	v_fmamk_f32 v15, v6, 0x3d64c772, v14
	v_mul_f32_e32 v11, 0x3f08b237, v11
	v_mul_f32_e32 v6, 0x3d64c772, v6
	v_fma_f32 v17, 0x3eae86e6, v21, -v26
	v_fma_f32 v18, 0xbf3bfb3b, v12, -v23
	;; [unrolled: 1-line block ×5, first 2 shown]
	v_fmamk_f32 v9, v9, 0xbf955555, v0
	v_fmamk_f32 v16, v22, 0xbeae86e6, v11
	v_fma_f32 v14, 0xbf3bfb3b, v4, -v14
	v_add_f32_e32 v12, v18, v7
	v_add_f32_e32 v18, v5, v7
	v_fma_f32 v19, 0xbf5ff5aa, v13, -v11
	v_fma_f32 v6, 0x3f3bfb3b, v4, -v6
	v_fmac_f32_e32 v10, 0xbee1c552, v8
	v_fmac_f32_e32 v24, 0xbee1c552, v8
	v_add_f32_e32 v15, v15, v9
	v_fmac_f32_e32 v16, 0xbee1c552, v2
	v_fmac_f32_e32 v17, 0xbee1c552, v8
	v_add_f32_e32 v14, v14, v9
	;; [unrolled: 3-line block ×3, first 2 shown]
	v_sub_f32_e32 v7, v18, v10
	v_add_f32_e32 v9, v10, v18
	v_mad_u16 v6, 0x15e, v111, v112
	v_mov_b32_e32 v10, 3
	v_add_f32_e32 v5, v17, v12
	v_sub_f32_e32 v11, v12, v17
	v_sub_f32_e32 v13, v25, v24
	v_add_f32_e32 v12, v16, v15
	v_lshlrev_b32_sdwa v17, v10, v6 dst_sel:DWORD dst_unused:UNUSED_PAD src0_sel:DWORD src1_sel:WORD_0
	v_sub_f32_e32 v8, v2, v19
	v_add_f32_e32 v10, v21, v14
	v_sub_f32_e32 v4, v14, v21
	v_add_f32_e32 v6, v19, v2
	v_add_f32_e32 v3, v24, v25
	v_sub_f32_e32 v2, v15, v16
	ds_write2_b64 v17, v[0:1], v[12:13] offset1:50
	ds_write2_b64 v17, v[10:11], v[8:9] offset0:100 offset1:150
	ds_write2_b64 v17, v[6:7], v[4:5] offset0:200 offset1:250
	ds_write_b64 v17, v[2:3] offset:2400
.LBB0_9:
	s_or_b32 exec_lo, exec_lo, s0
	v_add_nc_u32_e32 v26, 0xa00, v106
	v_add_nc_u32_e32 v21, 0x1400, v106
	;; [unrolled: 1-line block ×4, first 2 shown]
	s_waitcnt lgkmcnt(0)
	s_barrier
	buffer_gl0_inv
	ds_read2_b64 v[1:4], v26 offset0:30 offset1:205
	ds_read2_b64 v[5:8], v21 offset0:60 offset1:235
	;; [unrolled: 1-line block ×4, first 2 shown]
	ds_read2_b64 v[17:20], v106 offset1:175
	s_mov_b32 s0, 0x835d548e
	s_mov_b32 s1, 0x3f42b97d
	s_mul_i32 s2, s9, 0x1b58
	s_mul_hi_u32 s3, s8, 0x1b58
	s_mul_hi_u32 s5, s8, 0xffffea20
	s_add_i32 s3, s3, s2
	s_mul_i32 s2, s8, 0x1b58
	s_mul_i32 s4, s9, 0xffffea20
	s_sub_i32 s5, s5, s8
	s_add_i32 s5, s5, s4
	s_mul_i32 s4, s8, 0xffffea20
	s_waitcnt lgkmcnt(3)
	v_mul_f32_e32 v25, v67, v6
	s_waitcnt lgkmcnt(2)
	v_mul_f32_e32 v28, v61, v10
	v_mul_f32_e32 v23, v65, v2
	;; [unrolled: 1-line block ×3, first 2 shown]
	s_waitcnt lgkmcnt(1)
	v_mul_f32_e32 v30, v63, v14
	v_mul_f32_e32 v31, v63, v13
	;; [unrolled: 1-line block ×3, first 2 shown]
	v_fmac_f32_e32 v23, v64, v1
	v_fmac_f32_e32 v25, v66, v5
	;; [unrolled: 1-line block ×3, first 2 shown]
	v_mul_f32_e32 v27, v67, v5
	v_mul_f32_e32 v29, v61, v9
	;; [unrolled: 1-line block ×5, first 2 shown]
	v_fma_f32 v24, v64, v2, -v24
	v_fmac_f32_e32 v30, v62, v13
	v_fma_f32 v13, v62, v14, -v31
	v_fmac_f32_e32 v32, v68, v3
	v_add_f32_e32 v1, v25, v28
	v_mul_f32_e32 v2, v57, v11
	s_waitcnt lgkmcnt(0)
	v_add_f32_e32 v3, v17, v23
	v_fma_f32 v27, v66, v6, -v27
	v_fma_f32 v29, v60, v10, -v29
	;; [unrolled: 1-line block ×3, first 2 shown]
	v_fmac_f32_e32 v34, v70, v7
	v_fma_f32 v33, v70, v8, -v35
	v_mul_f32_e32 v35, v57, v12
	v_fma_f32 v1, -0.5, v1, v17
	v_sub_f32_e32 v4, v24, v13
	v_fma_f32 v36, v56, v12, -v2
	v_add_f32_e32 v2, v3, v25
	v_sub_f32_e32 v5, v23, v25
	v_sub_f32_e32 v7, v30, v28
	v_add_f32_e32 v8, v23, v30
	v_fmac_f32_e32 v35, v56, v11
	v_fmamk_f32 v3, v4, 0xbf737871, v1
	v_sub_f32_e32 v6, v27, v29
	v_mul_f32_e32 v9, v59, v15
	v_add_f32_e32 v2, v2, v28
	v_add_f32_e32 v10, v5, v7
	v_fma_f32 v5, -0.5, v8, v17
	v_fmac_f32_e32 v1, 0x3f737871, v4
	v_add_f32_e32 v11, v18, v24
	v_mul_f32_e32 v14, v59, v16
	v_fmac_f32_e32 v3, 0xbf167918, v6
	v_fma_f32 v16, v58, v16, -v9
	v_add_f32_e32 v7, v2, v30
	v_fmamk_f32 v9, v6, 0x3f737871, v5
	v_sub_f32_e32 v2, v25, v23
	v_sub_f32_e32 v8, v28, v30
	v_fmac_f32_e32 v1, 0x3f167918, v6
	v_add_f32_e32 v12, v27, v29
	v_fmac_f32_e32 v5, 0xbf737871, v6
	v_add_f32_e32 v6, v11, v27
	v_fmac_f32_e32 v14, v58, v15
	v_fmac_f32_e32 v3, 0x3e9e377a, v10
	;; [unrolled: 1-line block ×3, first 2 shown]
	v_add_f32_e32 v8, v2, v8
	v_fma_f32 v2, -0.5, v12, v18
	v_sub_f32_e32 v12, v23, v30
	v_fmac_f32_e32 v1, 0x3e9e377a, v10
	v_fmac_f32_e32 v5, 0x3f167918, v4
	v_add_f32_e32 v10, v6, v29
	v_add_f32_e32 v6, v24, v13
	v_sub_f32_e32 v15, v24, v27
	v_sub_f32_e32 v17, v13, v29
	v_fmac_f32_e32 v9, 0x3e9e377a, v8
	v_fmamk_f32 v4, v12, 0x3f737871, v2
	v_sub_f32_e32 v11, v25, v28
	v_fmac_f32_e32 v5, 0x3e9e377a, v8
	v_fma_f32 v6, -0.5, v6, v18
	v_add_f32_e32 v8, v10, v13
	v_add_f32_e32 v15, v15, v17
	v_fmac_f32_e32 v2, 0xbf737871, v12
	v_sub_f32_e32 v17, v27, v24
	v_sub_f32_e32 v13, v29, v13
	v_add_f32_e32 v18, v34, v35
	v_fmac_f32_e32 v4, 0x3f167918, v11
	v_fmamk_f32 v10, v11, 0xbf737871, v6
	v_fmac_f32_e32 v2, 0xbf167918, v11
	v_add_f32_e32 v17, v17, v13
	v_fmac_f32_e32 v6, 0x3f737871, v11
	v_add_f32_e32 v13, v19, v32
	v_fma_f32 v11, -0.5, v18, v19
	v_sub_f32_e32 v18, v31, v16
	v_add_f32_e32 v25, v32, v14
	v_fmac_f32_e32 v4, 0x3e9e377a, v15
	v_fmac_f32_e32 v10, 0x3f167918, v12
	;; [unrolled: 1-line block ×4, first 2 shown]
	v_add_f32_e32 v12, v13, v34
	v_fmamk_f32 v13, v18, 0xbf737871, v11
	v_sub_f32_e32 v23, v33, v36
	v_sub_f32_e32 v15, v32, v34
	;; [unrolled: 1-line block ×3, first 2 shown]
	v_fmac_f32_e32 v11, 0x3f737871, v18
	v_fma_f32 v19, -0.5, v25, v19
	v_fmac_f32_e32 v10, 0x3e9e377a, v17
	v_add_f32_e32 v12, v12, v35
	v_fmac_f32_e32 v13, 0xbf167918, v23
	v_add_f32_e32 v24, v15, v24
	v_fmac_f32_e32 v11, 0x3f167918, v23
	v_fmac_f32_e32 v6, 0x3e9e377a, v17
	v_fmamk_f32 v17, v23, 0x3f737871, v19
	v_fmac_f32_e32 v19, 0xbf737871, v23
	v_add_f32_e32 v23, v20, v31
	v_add_f32_e32 v15, v12, v14
	v_fmac_f32_e32 v13, 0x3e9e377a, v24
	v_fmac_f32_e32 v11, 0x3e9e377a, v24
	v_add_f32_e32 v12, v33, v36
	v_sub_f32_e32 v24, v34, v32
	v_sub_f32_e32 v25, v35, v14
	v_fmac_f32_e32 v17, 0xbf167918, v18
	v_fmac_f32_e32 v19, 0x3f167918, v18
	v_add_f32_e32 v18, v23, v33
	v_add_f32_e32 v23, v31, v16
	v_fma_f32 v12, -0.5, v12, v20
	v_sub_f32_e32 v27, v32, v14
	v_add_f32_e32 v24, v24, v25
	v_sub_f32_e32 v25, v34, v35
	v_fmac_f32_e32 v20, -0.5, v23
	v_sub_f32_e32 v23, v31, v33
	v_fmamk_f32 v14, v27, 0x3f737871, v12
	v_fmac_f32_e32 v17, 0x3e9e377a, v24
	v_fmac_f32_e32 v19, 0x3e9e377a, v24
	v_add_f32_e32 v24, v18, v36
	v_sub_f32_e32 v28, v16, v36
	v_fmac_f32_e32 v12, 0xbf737871, v27
	v_fmamk_f32 v18, v25, 0xbf737871, v20
	v_sub_f32_e32 v29, v33, v31
	v_sub_f32_e32 v30, v36, v16
	v_fmac_f32_e32 v20, 0x3f737871, v25
	v_fmac_f32_e32 v14, 0x3f167918, v25
	v_add_f32_e32 v23, v23, v28
	v_fmac_f32_e32 v12, 0xbf167918, v25
	v_fmac_f32_e32 v18, 0x3f167918, v27
	v_add_f32_e32 v25, v29, v30
	v_fmac_f32_e32 v20, 0xbf167918, v27
	v_add_f32_e32 v16, v24, v16
	v_fmac_f32_e32 v14, 0x3e9e377a, v23
	v_fmac_f32_e32 v12, 0x3e9e377a, v23
	;; [unrolled: 1-line block ×4, first 2 shown]
	ds_write_b64 v106, v[3:4] offset:2800
	ds_write_b64 v106, v[9:10] offset:5600
	;; [unrolled: 1-line block ×4, first 2 shown]
	ds_write2_b64 v106, v[7:8], v[15:16] offset1:175
	ds_write_b64 v106, v[13:14] offset:4200
	ds_write_b64 v106, v[17:18] offset:7000
	;; [unrolled: 1-line block ×4, first 2 shown]
	s_waitcnt lgkmcnt(0)
	s_barrier
	buffer_gl0_inv
	ds_read2_b64 v[1:4], v106 offset1:175
	ds_read2_b64 v[5:8], v21 offset0:60 offset1:235
	v_mad_u64_u32 v[18:19], null, s8, v105, 0
	s_waitcnt lgkmcnt(1)
	v_mul_f32_e32 v9, v96, v2
	s_waitcnt lgkmcnt(0)
	v_mul_f32_e32 v13, v100, v8
	v_mul_f32_e32 v11, v100, v7
	;; [unrolled: 1-line block ×4, first 2 shown]
	v_fmac_f32_e32 v9, v95, v1
	v_fmac_f32_e32 v13, v99, v7
	v_fma_f32 v14, v99, v8, -v11
	v_fma_f32 v10, v95, v2, -v10
	v_mad_u64_u32 v[11:12], null, s10, v80, 0
	v_cvt_f64_f32_e32 v[7:8], v13
	v_cvt_f64_f32_e32 v[1:2], v9
	;; [unrolled: 1-line block ×4, first 2 shown]
	v_fmac_f32_e32 v23, v83, v3
	v_mul_f64 v[20:21], v[7:8], s[0:1]
	v_mul_f64 v[1:2], v[1:2], s[0:1]
	v_mad_u64_u32 v[15:16], null, s11, v80, v[12:13]
	v_mul_f64 v[16:17], v[9:10], s[0:1]
	ds_read2_b64 v[7:10], v22 offset0:26 offset1:201
	v_mul_f64 v[13:14], v[13:14], s[0:1]
	v_cvt_f64_f32_e32 v[22:23], v23
	v_mov_b32_e32 v12, v15
	v_lshlrev_b64 v[11:12], 3, v[11:12]
	v_mad_u64_u32 v[24:25], null, s9, v105, v[19:20]
	v_cvt_f32_f64_e32 v15, v[1:2]
	v_mul_f32_e32 v1, v84, v3
	s_waitcnt lgkmcnt(0)
	v_mul_f32_e32 v2, v98, v7
	v_add_co_u32 v25, vcc_lo, s6, v11
	v_cvt_f32_f64_e32 v16, v[16:17]
	v_mov_b32_e32 v19, v24
	v_add_co_ci_u32_e32 v27, vcc_lo, s7, v12, vcc_lo
	v_cvt_f32_f64_e32 v17, v[20:21]
	v_lshlrev_b64 v[11:12], 3, v[18:19]
	v_cvt_f32_f64_e32 v18, v[13:14]
	v_mul_f32_e32 v13, v98, v8
	v_fma_f32 v14, v83, v4, -v1
	v_mul_f64 v[19:20], v[22:23], s[0:1]
	v_fma_f32 v23, v97, v8, -v2
	ds_read2_b64 v[1:4], v26 offset0:30 offset1:205
	v_fmac_f32_e32 v13, v97, v7
	v_add_co_u32 v25, vcc_lo, v25, v11
	v_cvt_f64_f32_e32 v[23:24], v23
	v_add_co_ci_u32_e32 v26, vcc_lo, v27, v12, vcc_lo
	v_cvt_f64_f32_e32 v[21:22], v13
	v_add_co_u32 v27, vcc_lo, v25, s2
	v_cvt_f64_f32_e32 v[7:8], v14
	v_add_co_ci_u32_e32 v28, vcc_lo, s3, v26, vcc_lo
	ds_read2_b64 v[11:14], v0 offset0:56 offset1:231
	global_store_dwordx2 v[25:26], v[15:16], off
	global_store_dwordx2 v[27:28], v[17:18], off
	s_waitcnt lgkmcnt(1)
	v_mul_f32_e32 v25, v94, v2
	v_mul_f32_e32 v15, v94, v1
	v_cvt_f32_f64_e32 v0, v[19:20]
	v_fmac_f32_e32 v25, v93, v1
	v_fma_f32 v1, v93, v2, -v15
	v_mul_f64 v[17:18], v[23:24], s[0:1]
	v_mul_f32_e32 v24, v90, v3
	v_mul_f64 v[15:16], v[21:22], s[0:1]
	v_mul_f32_e32 v2, v92, v9
	v_cvt_f64_f32_e32 v[21:22], v1
	v_mul_f32_e32 v1, v92, v10
	v_mul_f32_e32 v23, v90, v4
	s_waitcnt lgkmcnt(0)
	v_mul_f32_e32 v29, v82, v12
	v_fma_f32 v4, v89, v4, -v24
	v_cvt_f64_f32_e32 v[19:20], v25
	v_fmac_f32_e32 v1, v91, v9
	v_fma_f32 v9, v91, v10, -v2
	v_fmac_f32_e32 v23, v89, v3
	v_fmac_f32_e32 v29, v81, v11
	v_cvt_f64_f32_e32 v[25:26], v4
	v_cvt_f64_f32_e32 v[2:3], v1
	v_mul_f32_e32 v1, v82, v11
	v_mul_f32_e32 v11, v86, v6
	;; [unrolled: 1-line block ×3, first 2 shown]
	v_mul_f64 v[7:8], v[7:8], s[0:1]
	v_mul_f32_e32 v31, v88, v14
	v_mul_f32_e32 v32, v88, v13
	v_fma_f32 v1, v81, v12, -v1
	v_fmac_f32_e32 v11, v85, v5
	v_fma_f32 v6, v85, v6, -v4
	v_cvt_f64_f32_e32 v[9:10], v9
	v_fmac_f32_e32 v31, v87, v13
	v_fma_f32 v33, v87, v14, -v32
	v_cvt_f64_f32_e32 v[23:24], v23
	v_cvt_f64_f32_e32 v[29:30], v29
	v_cvt_f64_f32_e32 v[4:5], v1
	v_cvt_f64_f32_e32 v[11:12], v11
	v_cvt_f64_f32_e32 v[13:14], v6
	v_cvt_f64_f32_e32 v[31:32], v31
	v_cvt_f64_f32_e32 v[33:34], v33
	v_cvt_f32_f64_e32 v15, v[15:16]
	v_cvt_f32_f64_e32 v16, v[17:18]
	v_mul_f64 v[2:3], v[2:3], s[0:1]
	v_cvt_f32_f64_e32 v1, v[7:8]
	v_mul_f64 v[6:7], v[19:20], s[0:1]
	v_mul_f64 v[19:20], v[21:22], s[0:1]
	v_add_co_u32 v21, vcc_lo, v27, s4
	v_add_co_ci_u32_e32 v22, vcc_lo, s5, v28, vcc_lo
	v_mul_f64 v[8:9], v[9:10], s[0:1]
	v_mul_f64 v[17:18], v[23:24], s[0:1]
	;; [unrolled: 1-line block ×9, first 2 shown]
	v_add_co_u32 v31, vcc_lo, v21, s2
	v_add_co_ci_u32_e32 v32, vcc_lo, s3, v22, vcc_lo
	v_cvt_f32_f64_e32 v2, v[2:3]
	global_store_dwordx2 v[21:22], v[0:1], off
	v_cvt_f32_f64_e32 v6, v[6:7]
	v_cvt_f32_f64_e32 v7, v[19:20]
	v_add_co_u32 v19, vcc_lo, v31, s4
	v_add_co_ci_u32_e32 v20, vcc_lo, s5, v32, vcc_lo
	v_cvt_f32_f64_e32 v3, v[8:9]
	v_add_co_u32 v8, vcc_lo, v19, s2
	v_add_co_ci_u32_e32 v9, vcc_lo, s3, v20, vcc_lo
	v_cvt_f32_f64_e32 v17, v[17:18]
	v_cvt_f32_f64_e32 v18, v[23:24]
	;; [unrolled: 1-line block ×8, first 2 shown]
	v_add_co_u32 v12, vcc_lo, v8, s4
	v_add_co_ci_u32_e32 v13, vcc_lo, s5, v9, vcc_lo
	global_store_dwordx2 v[31:32], v[15:16], off
	v_add_co_u32 v0, vcc_lo, v12, s2
	v_add_co_ci_u32_e32 v1, vcc_lo, s3, v13, vcc_lo
	global_store_dwordx2 v[19:20], v[6:7], off
	v_add_co_u32 v14, vcc_lo, v0, s4
	v_add_co_ci_u32_e32 v15, vcc_lo, s5, v1, vcc_lo
	v_add_co_u32 v6, vcc_lo, v14, s2
	v_add_co_ci_u32_e32 v7, vcc_lo, s3, v15, vcc_lo
	global_store_dwordx2 v[8:9], v[2:3], off
	global_store_dwordx2 v[12:13], v[17:18], off
	;; [unrolled: 1-line block ×5, first 2 shown]
.LBB0_10:
	s_endpgm
	.section	.rodata,"a",@progbits
	.p2align	6, 0x0
	.amdhsa_kernel bluestein_single_back_len1750_dim1_sp_op_CI_CI
		.amdhsa_group_segment_fixed_size 14000
		.amdhsa_private_segment_fixed_size 0
		.amdhsa_kernarg_size 104
		.amdhsa_user_sgpr_count 6
		.amdhsa_user_sgpr_private_segment_buffer 1
		.amdhsa_user_sgpr_dispatch_ptr 0
		.amdhsa_user_sgpr_queue_ptr 0
		.amdhsa_user_sgpr_kernarg_segment_ptr 1
		.amdhsa_user_sgpr_dispatch_id 0
		.amdhsa_user_sgpr_flat_scratch_init 0
		.amdhsa_user_sgpr_private_segment_size 0
		.amdhsa_wavefront_size32 1
		.amdhsa_uses_dynamic_stack 0
		.amdhsa_system_sgpr_private_segment_wavefront_offset 0
		.amdhsa_system_sgpr_workgroup_id_x 1
		.amdhsa_system_sgpr_workgroup_id_y 0
		.amdhsa_system_sgpr_workgroup_id_z 0
		.amdhsa_system_sgpr_workgroup_info 0
		.amdhsa_system_vgpr_workitem_id 0
		.amdhsa_next_free_vgpr 180
		.amdhsa_next_free_sgpr 20
		.amdhsa_reserve_vcc 1
		.amdhsa_reserve_flat_scratch 0
		.amdhsa_float_round_mode_32 0
		.amdhsa_float_round_mode_16_64 0
		.amdhsa_float_denorm_mode_32 3
		.amdhsa_float_denorm_mode_16_64 3
		.amdhsa_dx10_clamp 1
		.amdhsa_ieee_mode 1
		.amdhsa_fp16_overflow 0
		.amdhsa_workgroup_processor_mode 1
		.amdhsa_memory_ordered 1
		.amdhsa_forward_progress 0
		.amdhsa_shared_vgpr_count 0
		.amdhsa_exception_fp_ieee_invalid_op 0
		.amdhsa_exception_fp_denorm_src 0
		.amdhsa_exception_fp_ieee_div_zero 0
		.amdhsa_exception_fp_ieee_overflow 0
		.amdhsa_exception_fp_ieee_underflow 0
		.amdhsa_exception_fp_ieee_inexact 0
		.amdhsa_exception_int_div_zero 0
	.end_amdhsa_kernel
	.text
.Lfunc_end0:
	.size	bluestein_single_back_len1750_dim1_sp_op_CI_CI, .Lfunc_end0-bluestein_single_back_len1750_dim1_sp_op_CI_CI
                                        ; -- End function
	.section	.AMDGPU.csdata,"",@progbits
; Kernel info:
; codeLenInByte = 12400
; NumSgprs: 22
; NumVgprs: 180
; ScratchSize: 0
; MemoryBound: 0
; FloatMode: 240
; IeeeMode: 1
; LDSByteSize: 14000 bytes/workgroup (compile time only)
; SGPRBlocks: 2
; VGPRBlocks: 22
; NumSGPRsForWavesPerEU: 22
; NumVGPRsForWavesPerEU: 180
; Occupancy: 5
; WaveLimiterHint : 1
; COMPUTE_PGM_RSRC2:SCRATCH_EN: 0
; COMPUTE_PGM_RSRC2:USER_SGPR: 6
; COMPUTE_PGM_RSRC2:TRAP_HANDLER: 0
; COMPUTE_PGM_RSRC2:TGID_X_EN: 1
; COMPUTE_PGM_RSRC2:TGID_Y_EN: 0
; COMPUTE_PGM_RSRC2:TGID_Z_EN: 0
; COMPUTE_PGM_RSRC2:TIDIG_COMP_CNT: 0
	.text
	.p2alignl 6, 3214868480
	.fill 48, 4, 3214868480
	.type	__hip_cuid_82ff38b75d7f25e1,@object ; @__hip_cuid_82ff38b75d7f25e1
	.section	.bss,"aw",@nobits
	.globl	__hip_cuid_82ff38b75d7f25e1
__hip_cuid_82ff38b75d7f25e1:
	.byte	0                               ; 0x0
	.size	__hip_cuid_82ff38b75d7f25e1, 1

	.ident	"AMD clang version 19.0.0git (https://github.com/RadeonOpenCompute/llvm-project roc-6.4.0 25133 c7fe45cf4b819c5991fe208aaa96edf142730f1d)"
	.section	".note.GNU-stack","",@progbits
	.addrsig
	.addrsig_sym __hip_cuid_82ff38b75d7f25e1
	.amdgpu_metadata
---
amdhsa.kernels:
  - .args:
      - .actual_access:  read_only
        .address_space:  global
        .offset:         0
        .size:           8
        .value_kind:     global_buffer
      - .actual_access:  read_only
        .address_space:  global
        .offset:         8
        .size:           8
        .value_kind:     global_buffer
      - .actual_access:  read_only
        .address_space:  global
        .offset:         16
        .size:           8
        .value_kind:     global_buffer
      - .actual_access:  read_only
        .address_space:  global
        .offset:         24
        .size:           8
        .value_kind:     global_buffer
      - .actual_access:  read_only
        .address_space:  global
        .offset:         32
        .size:           8
        .value_kind:     global_buffer
      - .offset:         40
        .size:           8
        .value_kind:     by_value
      - .address_space:  global
        .offset:         48
        .size:           8
        .value_kind:     global_buffer
      - .address_space:  global
        .offset:         56
        .size:           8
        .value_kind:     global_buffer
      - .address_space:  global
        .offset:         64
        .size:           8
        .value_kind:     global_buffer
      - .address_space:  global
        .offset:         72
        .size:           8
        .value_kind:     global_buffer
      - .offset:         80
        .size:           4
        .value_kind:     by_value
      - .address_space:  global
        .offset:         88
        .size:           8
        .value_kind:     global_buffer
      - .address_space:  global
        .offset:         96
        .size:           8
        .value_kind:     global_buffer
    .group_segment_fixed_size: 14000
    .kernarg_segment_align: 8
    .kernarg_segment_size: 104
    .language:       OpenCL C
    .language_version:
      - 2
      - 0
    .max_flat_workgroup_size: 175
    .name:           bluestein_single_back_len1750_dim1_sp_op_CI_CI
    .private_segment_fixed_size: 0
    .sgpr_count:     22
    .sgpr_spill_count: 0
    .symbol:         bluestein_single_back_len1750_dim1_sp_op_CI_CI.kd
    .uniform_work_group_size: 1
    .uses_dynamic_stack: false
    .vgpr_count:     180
    .vgpr_spill_count: 0
    .wavefront_size: 32
    .workgroup_processor_mode: 1
amdhsa.target:   amdgcn-amd-amdhsa--gfx1030
amdhsa.version:
  - 1
  - 2
...

	.end_amdgpu_metadata
